;; amdgpu-corpus repo=ROCm/rocFFT kind=compiled arch=gfx1100 opt=O3
	.text
	.amdgcn_target "amdgcn-amd-amdhsa--gfx1100"
	.amdhsa_code_object_version 6
	.protected	fft_rtc_back_len1575_factors_3_3_5_7_5_wgs_63_tpt_63_halfLds_half_ip_CI_unitstride_sbrr_dirReg ; -- Begin function fft_rtc_back_len1575_factors_3_3_5_7_5_wgs_63_tpt_63_halfLds_half_ip_CI_unitstride_sbrr_dirReg
	.globl	fft_rtc_back_len1575_factors_3_3_5_7_5_wgs_63_tpt_63_halfLds_half_ip_CI_unitstride_sbrr_dirReg
	.p2align	8
	.type	fft_rtc_back_len1575_factors_3_3_5_7_5_wgs_63_tpt_63_halfLds_half_ip_CI_unitstride_sbrr_dirReg,@function
fft_rtc_back_len1575_factors_3_3_5_7_5_wgs_63_tpt_63_halfLds_half_ip_CI_unitstride_sbrr_dirReg: ; @fft_rtc_back_len1575_factors_3_3_5_7_5_wgs_63_tpt_63_halfLds_half_ip_CI_unitstride_sbrr_dirReg
; %bb.0:
	s_clause 0x2
	s_load_b128 s[4:7], s[0:1], 0x0
	s_load_b64 s[8:9], s[0:1], 0x50
	s_load_b64 s[10:11], s[0:1], 0x18
	v_mul_u32_u24_e32 v1, 0x411, v0
	v_mov_b32_e32 v3, 0
	v_mov_b32_e32 v4, 0
	s_delay_alu instid0(VALU_DEP_3) | instskip(SKIP_1) | instid1(VALU_DEP_1)
	v_lshrrev_b32_e32 v2, 16, v1
	v_mov_b32_e32 v1, 0
	v_dual_mov_b32 v6, v1 :: v_dual_add_nc_u32 v5, s15, v2
	s_waitcnt lgkmcnt(0)
	v_cmp_lt_u64_e64 s2, s[6:7], 2
	s_delay_alu instid0(VALU_DEP_1)
	s_and_b32 vcc_lo, exec_lo, s2
	s_cbranch_vccnz .LBB0_8
; %bb.1:
	s_load_b64 s[2:3], s[0:1], 0x10
	v_mov_b32_e32 v3, 0
	s_add_u32 s12, s10, 8
	v_mov_b32_e32 v4, 0
	s_addc_u32 s13, s11, 0
	s_mov_b64 s[16:17], 1
	s_waitcnt lgkmcnt(0)
	s_add_u32 s14, s2, 8
	s_addc_u32 s15, s3, 0
.LBB0_2:                                ; =>This Inner Loop Header: Depth=1
	s_load_b64 s[18:19], s[14:15], 0x0
                                        ; implicit-def: $vgpr7_vgpr8
	s_mov_b32 s2, exec_lo
	s_waitcnt lgkmcnt(0)
	v_or_b32_e32 v2, s19, v6
	s_delay_alu instid0(VALU_DEP_1)
	v_cmpx_ne_u64_e32 0, v[1:2]
	s_xor_b32 s3, exec_lo, s2
	s_cbranch_execz .LBB0_4
; %bb.3:                                ;   in Loop: Header=BB0_2 Depth=1
	v_cvt_f32_u32_e32 v2, s18
	v_cvt_f32_u32_e32 v7, s19
	s_sub_u32 s2, 0, s18
	s_subb_u32 s20, 0, s19
	s_delay_alu instid0(VALU_DEP_1) | instskip(NEXT) | instid1(VALU_DEP_1)
	v_fmac_f32_e32 v2, 0x4f800000, v7
	v_rcp_f32_e32 v2, v2
	s_waitcnt_depctr 0xfff
	v_mul_f32_e32 v2, 0x5f7ffffc, v2
	s_delay_alu instid0(VALU_DEP_1) | instskip(NEXT) | instid1(VALU_DEP_1)
	v_mul_f32_e32 v7, 0x2f800000, v2
	v_trunc_f32_e32 v7, v7
	s_delay_alu instid0(VALU_DEP_1) | instskip(SKIP_1) | instid1(VALU_DEP_2)
	v_fmac_f32_e32 v2, 0xcf800000, v7
	v_cvt_u32_f32_e32 v7, v7
	v_cvt_u32_f32_e32 v2, v2
	s_delay_alu instid0(VALU_DEP_2) | instskip(NEXT) | instid1(VALU_DEP_2)
	v_mul_lo_u32 v8, s2, v7
	v_mul_hi_u32 v9, s2, v2
	v_mul_lo_u32 v10, s20, v2
	s_delay_alu instid0(VALU_DEP_2) | instskip(SKIP_1) | instid1(VALU_DEP_2)
	v_add_nc_u32_e32 v8, v9, v8
	v_mul_lo_u32 v9, s2, v2
	v_add_nc_u32_e32 v8, v8, v10
	s_delay_alu instid0(VALU_DEP_2) | instskip(NEXT) | instid1(VALU_DEP_2)
	v_mul_hi_u32 v10, v2, v9
	v_mul_lo_u32 v11, v2, v8
	v_mul_hi_u32 v12, v2, v8
	v_mul_hi_u32 v13, v7, v9
	v_mul_lo_u32 v9, v7, v9
	v_mul_hi_u32 v14, v7, v8
	v_mul_lo_u32 v8, v7, v8
	v_add_co_u32 v10, vcc_lo, v10, v11
	v_add_co_ci_u32_e32 v11, vcc_lo, 0, v12, vcc_lo
	s_delay_alu instid0(VALU_DEP_2) | instskip(NEXT) | instid1(VALU_DEP_2)
	v_add_co_u32 v9, vcc_lo, v10, v9
	v_add_co_ci_u32_e32 v9, vcc_lo, v11, v13, vcc_lo
	v_add_co_ci_u32_e32 v10, vcc_lo, 0, v14, vcc_lo
	s_delay_alu instid0(VALU_DEP_2) | instskip(NEXT) | instid1(VALU_DEP_2)
	v_add_co_u32 v8, vcc_lo, v9, v8
	v_add_co_ci_u32_e32 v9, vcc_lo, 0, v10, vcc_lo
	s_delay_alu instid0(VALU_DEP_2) | instskip(NEXT) | instid1(VALU_DEP_2)
	v_add_co_u32 v2, vcc_lo, v2, v8
	v_add_co_ci_u32_e32 v7, vcc_lo, v7, v9, vcc_lo
	s_delay_alu instid0(VALU_DEP_2) | instskip(SKIP_1) | instid1(VALU_DEP_3)
	v_mul_hi_u32 v8, s2, v2
	v_mul_lo_u32 v10, s20, v2
	v_mul_lo_u32 v9, s2, v7
	s_delay_alu instid0(VALU_DEP_1) | instskip(SKIP_1) | instid1(VALU_DEP_2)
	v_add_nc_u32_e32 v8, v8, v9
	v_mul_lo_u32 v9, s2, v2
	v_add_nc_u32_e32 v8, v8, v10
	s_delay_alu instid0(VALU_DEP_2) | instskip(NEXT) | instid1(VALU_DEP_2)
	v_mul_hi_u32 v10, v2, v9
	v_mul_lo_u32 v11, v2, v8
	v_mul_hi_u32 v12, v2, v8
	v_mul_hi_u32 v13, v7, v9
	v_mul_lo_u32 v9, v7, v9
	v_mul_hi_u32 v14, v7, v8
	v_mul_lo_u32 v8, v7, v8
	v_add_co_u32 v10, vcc_lo, v10, v11
	v_add_co_ci_u32_e32 v11, vcc_lo, 0, v12, vcc_lo
	s_delay_alu instid0(VALU_DEP_2) | instskip(NEXT) | instid1(VALU_DEP_2)
	v_add_co_u32 v9, vcc_lo, v10, v9
	v_add_co_ci_u32_e32 v9, vcc_lo, v11, v13, vcc_lo
	v_add_co_ci_u32_e32 v10, vcc_lo, 0, v14, vcc_lo
	s_delay_alu instid0(VALU_DEP_2) | instskip(NEXT) | instid1(VALU_DEP_2)
	v_add_co_u32 v8, vcc_lo, v9, v8
	v_add_co_ci_u32_e32 v9, vcc_lo, 0, v10, vcc_lo
	s_delay_alu instid0(VALU_DEP_2) | instskip(NEXT) | instid1(VALU_DEP_2)
	v_add_co_u32 v2, vcc_lo, v2, v8
	v_add_co_ci_u32_e32 v13, vcc_lo, v7, v9, vcc_lo
	s_delay_alu instid0(VALU_DEP_2) | instskip(SKIP_1) | instid1(VALU_DEP_3)
	v_mul_hi_u32 v14, v5, v2
	v_mad_u64_u32 v[9:10], null, v6, v2, 0
	v_mad_u64_u32 v[7:8], null, v5, v13, 0
	;; [unrolled: 1-line block ×3, first 2 shown]
	s_delay_alu instid0(VALU_DEP_2) | instskip(NEXT) | instid1(VALU_DEP_3)
	v_add_co_u32 v2, vcc_lo, v14, v7
	v_add_co_ci_u32_e32 v7, vcc_lo, 0, v8, vcc_lo
	s_delay_alu instid0(VALU_DEP_2) | instskip(NEXT) | instid1(VALU_DEP_2)
	v_add_co_u32 v2, vcc_lo, v2, v9
	v_add_co_ci_u32_e32 v2, vcc_lo, v7, v10, vcc_lo
	v_add_co_ci_u32_e32 v7, vcc_lo, 0, v12, vcc_lo
	s_delay_alu instid0(VALU_DEP_2) | instskip(NEXT) | instid1(VALU_DEP_2)
	v_add_co_u32 v2, vcc_lo, v2, v11
	v_add_co_ci_u32_e32 v9, vcc_lo, 0, v7, vcc_lo
	s_delay_alu instid0(VALU_DEP_2) | instskip(SKIP_1) | instid1(VALU_DEP_3)
	v_mul_lo_u32 v10, s19, v2
	v_mad_u64_u32 v[7:8], null, s18, v2, 0
	v_mul_lo_u32 v11, s18, v9
	s_delay_alu instid0(VALU_DEP_2) | instskip(NEXT) | instid1(VALU_DEP_2)
	v_sub_co_u32 v7, vcc_lo, v5, v7
	v_add3_u32 v8, v8, v11, v10
	s_delay_alu instid0(VALU_DEP_1) | instskip(NEXT) | instid1(VALU_DEP_1)
	v_sub_nc_u32_e32 v10, v6, v8
	v_subrev_co_ci_u32_e64 v10, s2, s19, v10, vcc_lo
	v_add_co_u32 v11, s2, v2, 2
	s_delay_alu instid0(VALU_DEP_1) | instskip(SKIP_3) | instid1(VALU_DEP_3)
	v_add_co_ci_u32_e64 v12, s2, 0, v9, s2
	v_sub_co_u32 v13, s2, v7, s18
	v_sub_co_ci_u32_e32 v8, vcc_lo, v6, v8, vcc_lo
	v_subrev_co_ci_u32_e64 v10, s2, 0, v10, s2
	v_cmp_le_u32_e32 vcc_lo, s18, v13
	s_delay_alu instid0(VALU_DEP_3) | instskip(SKIP_1) | instid1(VALU_DEP_4)
	v_cmp_eq_u32_e64 s2, s19, v8
	v_cndmask_b32_e64 v13, 0, -1, vcc_lo
	v_cmp_le_u32_e32 vcc_lo, s19, v10
	v_cndmask_b32_e64 v14, 0, -1, vcc_lo
	v_cmp_le_u32_e32 vcc_lo, s18, v7
	;; [unrolled: 2-line block ×3, first 2 shown]
	v_cndmask_b32_e64 v15, 0, -1, vcc_lo
	v_cmp_eq_u32_e32 vcc_lo, s19, v10
	s_delay_alu instid0(VALU_DEP_2) | instskip(SKIP_3) | instid1(VALU_DEP_3)
	v_cndmask_b32_e64 v7, v15, v7, s2
	v_cndmask_b32_e32 v10, v14, v13, vcc_lo
	v_add_co_u32 v13, vcc_lo, v2, 1
	v_add_co_ci_u32_e32 v14, vcc_lo, 0, v9, vcc_lo
	v_cmp_ne_u32_e32 vcc_lo, 0, v10
	s_delay_alu instid0(VALU_DEP_2) | instskip(NEXT) | instid1(VALU_DEP_4)
	v_cndmask_b32_e32 v8, v14, v12, vcc_lo
	v_cndmask_b32_e32 v10, v13, v11, vcc_lo
	v_cmp_ne_u32_e32 vcc_lo, 0, v7
	s_delay_alu instid0(VALU_DEP_2)
	v_dual_cndmask_b32 v7, v2, v10 :: v_dual_cndmask_b32 v8, v9, v8
.LBB0_4:                                ;   in Loop: Header=BB0_2 Depth=1
	s_and_not1_saveexec_b32 s2, s3
	s_cbranch_execz .LBB0_6
; %bb.5:                                ;   in Loop: Header=BB0_2 Depth=1
	v_cvt_f32_u32_e32 v2, s18
	s_sub_i32 s3, 0, s18
	s_delay_alu instid0(VALU_DEP_1) | instskip(SKIP_2) | instid1(VALU_DEP_1)
	v_rcp_iflag_f32_e32 v2, v2
	s_waitcnt_depctr 0xfff
	v_mul_f32_e32 v2, 0x4f7ffffe, v2
	v_cvt_u32_f32_e32 v2, v2
	s_delay_alu instid0(VALU_DEP_1) | instskip(NEXT) | instid1(VALU_DEP_1)
	v_mul_lo_u32 v7, s3, v2
	v_mul_hi_u32 v7, v2, v7
	s_delay_alu instid0(VALU_DEP_1) | instskip(NEXT) | instid1(VALU_DEP_1)
	v_add_nc_u32_e32 v2, v2, v7
	v_mul_hi_u32 v2, v5, v2
	s_delay_alu instid0(VALU_DEP_1) | instskip(SKIP_1) | instid1(VALU_DEP_2)
	v_mul_lo_u32 v7, v2, s18
	v_add_nc_u32_e32 v8, 1, v2
	v_sub_nc_u32_e32 v7, v5, v7
	s_delay_alu instid0(VALU_DEP_1) | instskip(SKIP_1) | instid1(VALU_DEP_2)
	v_subrev_nc_u32_e32 v9, s18, v7
	v_cmp_le_u32_e32 vcc_lo, s18, v7
	v_dual_cndmask_b32 v7, v7, v9 :: v_dual_cndmask_b32 v2, v2, v8
	s_delay_alu instid0(VALU_DEP_1) | instskip(NEXT) | instid1(VALU_DEP_2)
	v_cmp_le_u32_e32 vcc_lo, s18, v7
	v_add_nc_u32_e32 v8, 1, v2
	s_delay_alu instid0(VALU_DEP_1)
	v_dual_cndmask_b32 v7, v2, v8 :: v_dual_mov_b32 v8, v1
.LBB0_6:                                ;   in Loop: Header=BB0_2 Depth=1
	s_or_b32 exec_lo, exec_lo, s2
	s_load_b64 s[2:3], s[12:13], 0x0
	s_delay_alu instid0(VALU_DEP_1) | instskip(NEXT) | instid1(VALU_DEP_2)
	v_mul_lo_u32 v2, v8, s18
	v_mul_lo_u32 v11, v7, s19
	v_mad_u64_u32 v[9:10], null, v7, s18, 0
	s_add_u32 s16, s16, 1
	s_addc_u32 s17, s17, 0
	s_add_u32 s12, s12, 8
	s_addc_u32 s13, s13, 0
	;; [unrolled: 2-line block ×3, first 2 shown]
	s_delay_alu instid0(VALU_DEP_1) | instskip(SKIP_1) | instid1(VALU_DEP_2)
	v_add3_u32 v2, v10, v11, v2
	v_sub_co_u32 v9, vcc_lo, v5, v9
	v_sub_co_ci_u32_e32 v2, vcc_lo, v6, v2, vcc_lo
	s_waitcnt lgkmcnt(0)
	s_delay_alu instid0(VALU_DEP_2) | instskip(NEXT) | instid1(VALU_DEP_2)
	v_mul_lo_u32 v10, s3, v9
	v_mul_lo_u32 v2, s2, v2
	v_mad_u64_u32 v[5:6], null, s2, v9, v[3:4]
	v_cmp_ge_u64_e64 s2, s[16:17], s[6:7]
	s_delay_alu instid0(VALU_DEP_1) | instskip(NEXT) | instid1(VALU_DEP_2)
	s_and_b32 vcc_lo, exec_lo, s2
	v_add3_u32 v4, v10, v6, v2
	s_delay_alu instid0(VALU_DEP_3)
	v_mov_b32_e32 v3, v5
	s_cbranch_vccnz .LBB0_9
; %bb.7:                                ;   in Loop: Header=BB0_2 Depth=1
	v_dual_mov_b32 v5, v7 :: v_dual_mov_b32 v6, v8
	s_branch .LBB0_2
.LBB0_8:
	v_dual_mov_b32 v8, v6 :: v_dual_mov_b32 v7, v5
.LBB0_9:
	s_lshl_b64 s[2:3], s[6:7], 3
                                        ; implicit-def: $vgpr15
                                        ; implicit-def: $vgpr72
                                        ; implicit-def: $vgpr57
                                        ; implicit-def: $vgpr65
                                        ; implicit-def: $vgpr58
                                        ; implicit-def: $vgpr71
                                        ; implicit-def: $vgpr50
                                        ; implicit-def: $vgpr70
                                        ; implicit-def: $vgpr33
                                        ; implicit-def: $vgpr68
                                        ; implicit-def: $vgpr55
                                        ; implicit-def: $vgpr19
                                        ; implicit-def: $vgpr62
                                        ; implicit-def: $vgpr30
                                        ; implicit-def: $vgpr63
                                        ; implicit-def: $vgpr28
                                        ; implicit-def: $vgpr26
                                        ; implicit-def: $vgpr18
                                        ; implicit-def: $vgpr64
                                        ; implicit-def: $vgpr10
                                        ; implicit-def: $vgpr29
                                        ; implicit-def: $vgpr20
                                        ; implicit-def: $vgpr32
                                        ; implicit-def: $vgpr21
                                        ; implicit-def: $vgpr60
                                        ; implicit-def: $vgpr59
                                        ; implicit-def: $vgpr17
                                        ; implicit-def: $vgpr9
                                        ; implicit-def: $vgpr12
                                        ; implicit-def: $vgpr16
                                        ; implicit-def: $vgpr13
                                        ; implicit-def: $vgpr11
                                        ; implicit-def: $vgpr66
                                        ; implicit-def: $vgpr27
                                        ; implicit-def: $vgpr69
                                        ; implicit-def: $vgpr25
                                        ; implicit-def: $vgpr67
                                        ; implicit-def: $vgpr31
                                        ; implicit-def: $vgpr73
                                        ; implicit-def: $vgpr54
                                        ; implicit-def: $vgpr53
                                        ; implicit-def: $vgpr22
                                        ; implicit-def: $vgpr74
                                        ; implicit-def: $vgpr56
                                        ; implicit-def: $vgpr51
                                        ; implicit-def: $vgpr23
                                        ; implicit-def: $vgpr75
                                        ; implicit-def: $vgpr61
                                        ; implicit-def: $vgpr52
                                        ; implicit-def: $vgpr24
	s_delay_alu instid0(SALU_CYCLE_1)
	s_add_u32 s2, s10, s2
	s_addc_u32 s3, s11, s3
	s_load_b64 s[2:3], s[2:3], 0x0
	s_load_b64 s[0:1], s[0:1], 0x20
	s_waitcnt lgkmcnt(0)
	v_mul_lo_u32 v5, s2, v8
	v_mul_lo_u32 v6, s3, v7
	v_mad_u64_u32 v[1:2], null, s2, v7, v[3:4]
	v_mul_hi_u32 v3, 0x4104105, v0
	v_cmp_gt_u64_e32 vcc_lo, s[0:1], v[7:8]
                                        ; implicit-def: $vgpr4
                                        ; implicit-def: $vgpr7
                                        ; implicit-def: $vgpr8
	s_delay_alu instid0(VALU_DEP_3) | instskip(NEXT) | instid1(VALU_DEP_3)
	v_add3_u32 v2, v6, v2, v5
	v_mul_u32_u24_e32 v3, 63, v3
	s_delay_alu instid0(VALU_DEP_2) | instskip(NEXT) | instid1(VALU_DEP_2)
	v_lshlrev_b64 v[1:2], 2, v[1:2]
	v_sub_nc_u32_e32 v3, v0, v3
                                        ; implicit-def: $vgpr0
	s_and_saveexec_b32 s1, vcc_lo
	s_cbranch_execz .LBB0_13
; %bb.10:
	v_mov_b32_e32 v4, 0
	s_delay_alu instid0(VALU_DEP_3) | instskip(NEXT) | instid1(VALU_DEP_1)
	v_add_co_u32 v0, s0, s8, v1
	v_add_co_ci_u32_e64 v7, s0, s9, v2, s0
	s_delay_alu instid0(VALU_DEP_3) | instskip(SKIP_1) | instid1(VALU_DEP_1)
	v_lshlrev_b64 v[4:5], 2, v[3:4]
	s_mov_b32 s2, exec_lo
                                        ; implicit-def: $vgpr11
                                        ; implicit-def: $vgpr13
                                        ; implicit-def: $vgpr16
                                        ; implicit-def: $vgpr12
                                        ; implicit-def: $vgpr9
                                        ; implicit-def: $vgpr17
	v_add_co_u32 v6, s0, v0, v4
	s_delay_alu instid0(VALU_DEP_1) | instskip(NEXT) | instid1(VALU_DEP_2)
	v_add_co_ci_u32_e64 v7, s0, v7, v5, s0
	v_add_co_u32 v4, s0, 0x1000, v6
	s_delay_alu instid0(VALU_DEP_1)
	v_add_co_ci_u32_e64 v5, s0, 0, v7, s0
	s_clause 0x17
	global_load_b32 v15, v[6:7], off
	global_load_b32 v24, v[6:7], off offset:252
	global_load_b32 v23, v[6:7], off offset:504
	;; [unrolled: 1-line block ×23, first 2 shown]
	v_cmpx_gt_u32_e32 21, v3
	s_cbranch_execz .LBB0_12
; %bb.11:
	s_clause 0x2
	global_load_b32 v11, v[6:7], off offset:2016
	global_load_b32 v9, v[4:5], off offset:20
	;; [unrolled: 1-line block ×3, first 2 shown]
	s_waitcnt vmcnt(2)
	v_lshrrev_b32_e32 v13, 16, v11
	s_waitcnt vmcnt(1)
	v_lshrrev_b32_e32 v17, 16, v9
	;; [unrolled: 2-line block ×3, first 2 shown]
.LBB0_12:
	s_or_b32 exec_lo, exec_lo, s2
	s_waitcnt vmcnt(23)
	v_lshrrev_b32_e32 v4, 16, v15
	s_waitcnt vmcnt(15)
	v_lshrrev_b32_e32 v72, 16, v57
	;; [unrolled: 2-line block ×3, first 2 shown]
	v_lshrrev_b32_e32 v52, 16, v24
	v_lshrrev_b32_e32 v71, 16, v50
	s_waitcnt vmcnt(6)
	v_lshrrev_b32_e32 v75, 16, v61
	v_lshrrev_b32_e32 v51, 16, v23
	v_lshrrev_b32_e32 v70, 16, v33
	s_waitcnt vmcnt(5)
	v_lshrrev_b32_e32 v68, 16, v55
	;; [unrolled: 4-line block ×7, first 2 shown]
.LBB0_13:
	s_or_b32 exec_lo, exec_lo, s1
	v_add_f16_e32 v5, v57, v58
	v_add_f16_e32 v6, v15, v57
	v_sub_f16_e32 v14, v72, v65
	v_add_f16_e32 v34, v61, v50
	v_add_f16_e32 v35, v33, v55
	v_fmac_f16_e32 v15, -0.5, v5
	v_add_f16_e32 v5, v24, v50
	v_mad_u32_u24 v76, v3, 6, 0
	v_fmac_f16_e32 v24, -0.5, v34
	v_add_f16_e32 v6, v6, v58
	v_fmamk_f16 v34, v14, 0xbaee, v15
	v_fmac_f16_e32 v15, 0x3aee, v14
	v_sub_f16_e32 v14, v71, v75
	v_add_f16_e32 v36, v61, v5
	v_add_f16_e32 v5, v23, v33
	v_fmac_f16_e32 v23, -0.5, v35
	v_sub_f16_e32 v35, v70, v68
	v_fmamk_f16 v37, v14, 0xbaee, v24
	v_fmac_f16_e32 v24, 0x3aee, v14
	v_add_f16_e32 v38, v5, v55
	v_add_f16_e32 v5, v56, v30
	v_fmamk_f16 v39, v35, 0xbaee, v23
	v_add_f16_e32 v14, v56, v19
	v_fmac_f16_e32 v23, 0x3aee, v35
	v_add_f16_e32 v35, v54, v28
	v_fmac_f16_e32 v19, -0.5, v5
	v_sub_f16_e32 v5, v74, v62
	v_add_f16_e32 v40, v14, v30
	v_add_f16_e32 v14, v54, v22
	v_fmac_f16_e32 v22, -0.5, v35
	v_sub_f16_e32 v35, v73, v63
	v_fmamk_f16 v41, v5, 0xbaee, v19
	v_fmac_f16_e32 v19, 0x3aee, v5
	v_add_f16_e32 v42, v14, v28
	v_add_f16_e32 v5, v31, v10
	v_fmamk_f16 v43, v35, 0xbaee, v22
	v_add_f16_e32 v14, v18, v10
	v_fmac_f16_e32 v22, 0x3aee, v35
	v_add_f16_e32 v35, v27, v25
	v_fmac_f16_e32 v18, -0.5, v5
	;; [unrolled: 14-line block ×3, first 2 shown]
	v_sub_f16_e32 v5, v60, v59
	v_add_f16_e32 v48, v14, v8
	v_add_f16_e32 v14, v9, v11
	v_fmac_f16_e32 v11, -0.5, v35
	v_sub_f16_e32 v35, v17, v12
	v_fmamk_f16 v49, v5, 0xbaee, v21
	v_fmac_f16_e32 v21, 0x3aee, v5
	v_add_f16_e32 v14, v16, v14
	v_add_nc_u32_e32 v77, 0x46e, v76
	v_fmamk_f16 v5, v35, 0xbaee, v11
	v_fmac_f16_e32 v11, 0x3aee, v35
	v_cmp_gt_u32_e64 s0, 21, v3
	ds_store_b16 v76, v6
	ds_store_b16 v76, v34 offset:2
	ds_store_b16 v76, v15 offset:4
	;; [unrolled: 1-line block ×23, first 2 shown]
	s_and_saveexec_b32 s1, s0
	s_cbranch_execz .LBB0_15
; %bb.14:
	ds_store_b16 v77, v14 offset:1890
	ds_store_b16 v77, v5 offset:1892
	;; [unrolled: 1-line block ×3, first 2 shown]
.LBB0_15:
	s_or_b32 exec_lo, exec_lo, s1
	v_lshl_add_u32 v6, v3, 1, 0
	s_waitcnt lgkmcnt(0)
	s_barrier
	buffer_gl0_inv
	ds_load_u16 v15, v6
	ds_load_u16 v18, v6 offset:126
	ds_load_u16 v19, v6 offset:252
	;; [unrolled: 1-line block ×23, first 2 shown]
	s_and_saveexec_b32 s1, s0
	s_cbranch_execz .LBB0_17
; %bb.16:
	ds_load_u16 v14, v6 offset:1008
	ds_load_u16 v5, v6 offset:2058
	;; [unrolled: 1-line block ×3, first 2 shown]
.LBB0_17:
	s_or_b32 exec_lo, exec_lo, s1
	v_add_f16_e32 v78, v72, v65
	v_add_f16_e32 v72, v4, v72
	v_sub_f16_e32 v57, v57, v58
	v_add_f16_e32 v58, v75, v71
	v_add_f16_e32 v71, v52, v71
	v_fmac_f16_e32 v4, -0.5, v78
	v_add_f16_e32 v78, v70, v68
	v_sub_f16_e32 v50, v50, v61
	v_fmac_f16_e32 v52, -0.5, v58
	v_add_f16_e32 v61, v51, v70
	v_sub_f16_e32 v33, v33, v55
	v_fmac_f16_e32 v51, -0.5, v78
	v_add_f16_e32 v70, v74, v7
	v_fmamk_f16 v55, v50, 0x3aee, v52
	v_fmac_f16_e32 v52, 0xbaee, v50
	v_add_f16_e32 v61, v61, v68
	v_add_f16_e32 v50, v74, v62
	v_fmamk_f16 v68, v33, 0x3aee, v51
	v_fmac_f16_e32 v51, 0xbaee, v33
	v_add_f16_e32 v33, v73, v63
	v_sub_f16_e32 v30, v56, v30
	v_fmac_f16_e32 v7, -0.5, v50
	v_add_f16_e32 v50, v73, v53
	v_sub_f16_e32 v28, v54, v28
	v_fmac_f16_e32 v53, -0.5, v33
	v_add_f16_e32 v56, v70, v62
	v_fmamk_f16 v33, v30, 0x3aee, v7
	v_fmac_f16_e32 v7, 0xbaee, v30
	v_add_f16_e32 v30, v50, v63
	v_add_f16_e32 v50, v67, v64
	v_fmamk_f16 v54, v28, 0x3aee, v53
	v_fmac_f16_e32 v53, 0xbaee, v28
	v_add_f16_e32 v28, v66, v69
	v_add_f16_e32 v62, v26, v64
	v_fmac_f16_e32 v26, -0.5, v50
	v_add_f16_e32 v50, v69, v29
	v_sub_f16_e32 v25, v25, v27
	v_fmac_f16_e32 v29, -0.5, v28
	v_sub_f16_e32 v10, v10, v31
	v_add_f16_e32 v31, v62, v67
	v_add_f16_e32 v28, v60, v59
	v_sub_f16_e32 v0, v0, v8
	v_fmamk_f16 v62, v25, 0x3aee, v29
	v_fmac_f16_e32 v29, 0xbaee, v25
	v_add_f16_e32 v25, v17, v12
	v_fmamk_f16 v27, v10, 0x3aee, v26
	v_fmac_f16_e32 v26, 0xbaee, v10
	v_add_f16_e32 v10, v66, v50
	v_add_f16_e32 v50, v32, v60
	;; [unrolled: 1-line block ×3, first 2 shown]
	v_fmac_f16_e32 v13, -0.5, v25
	v_sub_f16_e32 v9, v9, v16
	v_add_f16_e32 v65, v72, v65
	v_fmac_f16_e32 v32, -0.5, v28
	v_add_f16_e32 v17, v50, v59
	v_add_f16_e32 v16, v12, v8
	v_fmamk_f16 v50, v9, 0x3aee, v13
	v_fmac_f16_e32 v13, 0xbaee, v9
	v_fmamk_f16 v58, v57, 0x3aee, v4
	v_fmac_f16_e32 v4, 0xbaee, v57
	v_add_f16_e32 v57, v75, v71
	v_fmamk_f16 v25, v0, 0x3aee, v32
	v_fmac_f16_e32 v32, 0xbaee, v0
	s_waitcnt lgkmcnt(0)
	s_barrier
	buffer_gl0_inv
	ds_store_b16 v76, v65
	ds_store_b16 v76, v58 offset:2
	ds_store_b16 v76, v4 offset:4
	;; [unrolled: 1-line block ×23, first 2 shown]
	s_and_saveexec_b32 s1, s0
	s_cbranch_execz .LBB0_19
; %bb.18:
	ds_store_b16 v77, v16 offset:1890
	ds_store_b16 v77, v50 offset:1892
	;; [unrolled: 1-line block ×3, first 2 shown]
.LBB0_19:
	s_or_b32 exec_lo, exec_lo, s1
	s_waitcnt lgkmcnt(0)
	s_barrier
	buffer_gl0_inv
	ds_load_u16 v26, v6
	ds_load_u16 v27, v6 offset:126
	ds_load_u16 v28, v6 offset:252
	ds_load_u16 v29, v6 offset:378
	ds_load_u16 v30, v6 offset:504
	ds_load_u16 v31, v6 offset:630
	ds_load_u16 v32, v6 offset:756
	ds_load_u16 v33, v6 offset:882
	ds_load_u16 v65, v6 offset:1050
	ds_load_u16 v61, v6 offset:1176
	ds_load_u16 v59, v6 offset:1302
	ds_load_u16 v57, v6 offset:1428
	ds_load_u16 v55, v6 offset:1554
	ds_load_u16 v53, v6 offset:1680
	ds_load_u16 v52, v6 offset:1806
	ds_load_u16 v51, v6 offset:1932
	ds_load_u16 v66, v6 offset:2100
	ds_load_u16 v64, v6 offset:2226
	ds_load_u16 v63, v6 offset:2352
	ds_load_u16 v62, v6 offset:2478
	ds_load_u16 v60, v6 offset:2604
	ds_load_u16 v58, v6 offset:2730
	ds_load_u16 v56, v6 offset:2856
	ds_load_u16 v54, v6 offset:2982
	s_and_saveexec_b32 s1, s0
	s_cbranch_execz .LBB0_21
; %bb.20:
	ds_load_u16 v16, v6 offset:1008
	ds_load_u16 v50, v6 offset:2058
	;; [unrolled: 1-line block ×3, first 2 shown]
.LBB0_21:
	s_or_b32 exec_lo, exec_lo, s1
	v_add_nc_u32_e32 v9, 0xbd, v3
	v_and_b32_e32 v25, 0xff, v3
	v_add_nc_u32_e32 v7, 63, v3
	v_add_nc_u32_e32 v8, 0x7e, v3
	;; [unrolled: 1-line block ×3, first 2 shown]
	v_and_b32_e32 v4, 0xff, v9
	v_mul_lo_u16 v17, 0xab, v25
	v_and_b32_e32 v12, 0xff, v7
	v_and_b32_e32 v10, 0xff, v8
	v_add_nc_u32_e32 v0, 0xfc, v3
	v_mul_lo_u16 v71, 0xab, v4
	v_lshrrev_b16 v68, 9, v17
	v_mul_lo_u16 v17, 0xab, v12
	v_mul_lo_u16 v70, 0xab, v10
	v_add_nc_u32_e32 v69, 0x17a, v3
	v_lshrrev_b16 v71, 9, v71
	v_mul_lo_u16 v72, v68, 3
	v_lshrrev_b16 v74, 9, v17
	v_lshrrev_b16 v70, 9, v70
	v_and_b32_e32 v81, 0xffff, v67
	v_mul_lo_u16 v77, v71, 3
	v_sub_nc_u16 v17, v3, v72
	v_mul_lo_u16 v75, v74, 3
	v_mul_lo_u16 v76, v70, 3
	v_add_nc_u32_e32 v73, 0x1b9, v3
	v_sub_nc_u16 v77, v9, v77
	v_and_b32_e32 v79, 0xff, v17
	v_and_b32_e32 v17, 0xffff, v0
	v_add_nc_u32_e32 v72, 0x1f8, v3
	v_sub_nc_u16 v75, v7, v75
	v_sub_nc_u16 v76, v8, v76
	v_and_b32_e32 v82, 0xff, v77
	v_mul_u32_u24_e32 v77, 0xaaab, v81
	v_and_b32_e32 v81, 0xffff, v69
	v_mul_u32_u24_e32 v80, 0xaaab, v17
	v_and_b32_e32 v86, 0xffff, v73
	v_and_b32_e32 v75, 0xff, v75
	;; [unrolled: 1-line block ×4, first 2 shown]
	v_mul_u32_u24_e32 v81, 0xaaab, v81
	v_lshlrev_b32_e32 v78, 3, v79
	v_lshrrev_b32_e32 v80, 17, v80
	v_lshrrev_b32_e32 v89, 17, v77
	v_mul_u32_u24_e32 v86, 0xaaab, v86
	v_lshlrev_b32_e32 v83, 3, v75
	v_mul_u32_u24_e32 v87, 0xaaab, v87
	v_lshlrev_b32_e32 v84, 3, v76
	v_lshlrev_b32_e32 v85, 3, v82
	v_lshrrev_b32_e32 v81, 17, v81
	v_mul_lo_u16 v88, v80, 3
	s_clause 0x3
	global_load_b64 v[77:78], v78, s[4:5]
	global_load_b64 v[93:94], v83, s[4:5]
	;; [unrolled: 1-line block ×4, first 2 shown]
	v_lshrrev_b32_e32 v83, 17, v86
	v_mul_lo_u16 v84, v89, 3
	v_lshrrev_b32_e32 v85, 17, v87
	v_mul_lo_u16 v86, v81, 3
	v_sub_nc_u16 v87, v0, v88
	v_mul_lo_u16 v88, v83, 3
	v_sub_nc_u16 v67, v67, v84
	;; [unrolled: 2-line block ×3, first 2 shown]
	v_and_b32_e32 v86, 0xffff, v87
	v_sub_nc_u16 v73, v73, v88
	v_and_b32_e32 v87, 0xffff, v67
	v_sub_nc_u16 v67, v72, v84
	v_and_b32_e32 v69, 0xffff, v69
	v_lshlrev_b32_e32 v72, 3, v86
	v_and_b32_e32 v73, 0xffff, v73
	v_lshlrev_b32_e32 v84, 3, v87
	;; [unrolled: 2-line block ×3, first 2 shown]
	global_load_b64 v[99:100], v72, s[4:5]
	v_and_b32_e32 v70, 0xffff, v70
	global_load_b64 v[101:102], v84, s[4:5]
	v_lshlrev_b32_e32 v72, 3, v73
	v_lshlrev_b32_e32 v84, 3, v88
	s_clause 0x2
	global_load_b64 v[103:104], v67, s[4:5]
	global_load_b64 v[105:106], v72, s[4:5]
	;; [unrolled: 1-line block ×3, first 2 shown]
	v_and_b32_e32 v67, 0xffff, v68
	v_and_b32_e32 v72, 0xffff, v74
	;; [unrolled: 1-line block ×3, first 2 shown]
	v_mul_u32_u24_e32 v80, 18, v80
	v_mul_u32_u24_e32 v70, 18, v70
	;; [unrolled: 1-line block ×3, first 2 shown]
	v_mul_lo_u16 v67, v85, 9
	v_mul_u32_u24_e32 v72, 18, v72
	v_lshlrev_b32_e32 v74, 1, v79
	v_lshlrev_b32_e32 v75, 1, v75
	v_lshlrev_b32_e32 v79, 1, v76
	v_lshlrev_b32_e32 v85, 1, v86
	v_mul_u32_u24_e32 v84, 18, v89
	v_mul_u32_u24_e32 v81, 18, v81
	;; [unrolled: 1-line block ×4, first 2 shown]
	v_lshlrev_b32_e32 v82, 1, v82
	v_lshlrev_b32_e32 v86, 1, v87
	;; [unrolled: 1-line block ×4, first 2 shown]
	v_add3_u32 v76, 0, v72, v75
	v_add3_u32 v75, 0, v70, v79
	;; [unrolled: 1-line block ×8, first 2 shown]
	v_lshlrev_b32_e32 v68, 1, v88
	s_waitcnt vmcnt(0) lgkmcnt(0)
	s_barrier
	buffer_gl0_inv
	v_lshrrev_b32_e32 v79, 16, v77
	v_lshrrev_b32_e32 v80, 16, v78
	;; [unrolled: 1-line block ×5, first 2 shown]
	v_mul_f16_e32 v83, v65, v79
	v_mul_f16_e32 v79, v48, v79
	;; [unrolled: 1-line block ×4, first 2 shown]
	v_lshrrev_b32_e32 v87, 16, v96
	v_lshrrev_b32_e32 v109, 16, v97
	;; [unrolled: 1-line block ×3, first 2 shown]
	v_fmac_f16_e32 v83, v48, v77
	v_fma_f16 v92, v65, v77, -v79
	v_fma_f16 v89, v66, v78, -v80
	v_mul_f16_e32 v90, v61, v81
	v_fmac_f16_e32 v84, v49, v78
	v_mul_f16_e32 v91, v64, v82
	v_mul_f16_e32 v121, v44, v81
	;; [unrolled: 1-line block ×6, first 2 shown]
	v_lshrrev_b32_e32 v111, 16, v99
	v_lshrrev_b32_e32 v112, 16, v100
	;; [unrolled: 1-line block ×4, first 2 shown]
	v_mul_f16_e32 v124, v46, v87
	v_lshrrev_b32_e32 v116, 16, v104
	v_lshrrev_b32_e32 v115, 16, v103
	;; [unrolled: 1-line block ×6, first 2 shown]
	v_mul_f16_e32 v78, v56, v116
	v_mul_f16_e32 v65, v50, v119
	;; [unrolled: 1-line block ×15, first 2 shown]
	v_fmac_f16_e32 v90, v44, v93
	v_fmac_f16_e32 v65, v5, v107
	v_add_f16_e32 v5, v15, v83
	v_fmac_f16_e32 v66, v11, v108
	v_mul_f16_e32 v116, v39, v116
	v_fmac_f16_e32 v91, v47, v94
	v_fmac_f16_e32 v78, v39, v104
	v_add_f16_e32 v39, v83, v84
	v_mul_f16_e32 v109, v40, v109
	v_mul_f16_e32 v110, v45, v110
	;; [unrolled: 1-line block ×8, first 2 shown]
	v_fmac_f16_e32 v86, v42, v95
	v_fmac_f16_e32 v88, v46, v96
	;; [unrolled: 1-line block ×6, first 2 shown]
	v_fma_f16 v42, v60, v100, -v112
	v_fmac_f16_e32 v80, v36, v101
	v_fmac_f16_e32 v82, v41, v102
	;; [unrolled: 1-line block ×5, first 2 shown]
	v_fma_f16 v36, v50, v107, -v119
	v_fma_f16 v37, v13, v108, -v120
	v_add_f16_e32 v13, v5, v84
	v_add_f16_e32 v5, v18, v90
	;; [unrolled: 1-line block ×3, first 2 shown]
	v_fma_f16 v93, v61, v93, -v121
	v_fma_f16 v61, v64, v94, -v122
	v_fmac_f16_e32 v15, -0.5, v39
	v_add_f16_e32 v39, v90, v91
	v_fma_f16 v59, v59, v95, -v123
	v_fma_f16 v46, v63, v96, -v124
	;; [unrolled: 1-line block ×11, first 2 shown]
	v_sub_f16_e32 v11, v92, v89
	v_add_f16_e32 v52, v86, v88
	v_add_f16_e32 v55, v85, v87
	;; [unrolled: 1-line block ×6, first 2 shown]
	v_sub_f16_e32 v101, v36, v37
	v_add_f16_e32 v103, v5, v91
	v_fma_f16 v5, -0.5, v100, v14
	v_sub_f16_e32 v50, v93, v61
	v_fmac_f16_e32 v18, -0.5, v39
	v_add_f16_e32 v51, v19, v86
	v_sub_f16_e32 v53, v59, v46
	v_add_f16_e32 v54, v20, v85
	v_sub_f16_e32 v56, v47, v45
	v_add_f16_e32 v57, v21, v79
	v_sub_f16_e32 v60, v44, v42
	v_add_f16_e32 v62, v22, v80
	v_sub_f16_e32 v64, v43, v40
	v_add_f16_e32 v94, v23, v77
	v_sub_f16_e32 v96, v41, v38
	v_add_f16_e32 v97, v24, v48
	v_sub_f16_e32 v99, v35, v34
	v_fmamk_f16 v102, v11, 0xbaee, v15
	v_fmac_f16_e32 v15, 0x3aee, v11
	v_fmac_f16_e32 v19, -0.5, v52
	v_fmac_f16_e32 v20, -0.5, v55
	;; [unrolled: 1-line block ×6, first 2 shown]
	v_fmamk_f16 v11, v101, 0xbaee, v5
	v_fmac_f16_e32 v5, 0x3aee, v101
	v_fmamk_f16 v58, v50, 0xbaee, v18
	v_add_f16_e32 v39, v51, v88
	v_add_f16_e32 v51, v54, v87
	;; [unrolled: 1-line block ×6, first 2 shown]
	v_fmac_f16_e32 v18, 0x3aee, v50
	v_fmamk_f16 v50, v53, 0xbaee, v19
	v_fmac_f16_e32 v19, 0x3aee, v53
	v_fmamk_f16 v53, v56, 0xbaee, v20
	;; [unrolled: 2-line block ×6, first 2 shown]
	v_fmac_f16_e32 v24, 0x3aee, v99
	ds_store_b16 v74, v13
	ds_store_b16 v74, v102 offset:6
	ds_store_b16 v74, v15 offset:12
	ds_store_b16 v76, v103
	ds_store_b16 v76, v58 offset:6
	ds_store_b16 v76, v18 offset:12
	;; [unrolled: 3-line block ×8, first 2 shown]
	s_and_saveexec_b32 s1, s0
	s_cbranch_execz .LBB0_23
; %bb.22:
	v_and_b32_e32 v13, 0xffff, v67
	v_add_f16_e32 v14, v14, v65
	s_delay_alu instid0(VALU_DEP_2) | instskip(NEXT) | instid1(VALU_DEP_2)
	v_lshlrev_b32_e32 v13, 1, v13
	v_add_f16_e32 v14, v14, v66
	s_delay_alu instid0(VALU_DEP_2)
	v_add3_u32 v13, 0, v68, v13
	ds_store_b16 v13, v14
	ds_store_b16 v13, v11 offset:6
	ds_store_b16 v13, v5 offset:12
.LBB0_23:
	s_or_b32 exec_lo, exec_lo, s1
	v_add_f16_e32 v13, v92, v89
	v_add_f16_e32 v14, v26, v92
	v_sub_f16_e32 v15, v83, v84
	v_add_f16_e32 v18, v93, v61
	v_sub_f16_e32 v19, v90, v91
	v_fmac_f16_e32 v26, -0.5, v13
	v_add_f16_e32 v13, v27, v93
	v_add_f16_e32 v39, v14, v89
	;; [unrolled: 1-line block ×3, first 2 shown]
	v_fmac_f16_e32 v27, -0.5, v18
	v_fmamk_f16 v50, v15, 0x3aee, v26
	v_add_f16_e32 v51, v13, v61
	v_add_f16_e32 v13, v59, v46
	v_fmac_f16_e32 v26, 0xbaee, v15
	v_add_f16_e32 v15, v47, v45
	v_add_f16_e32 v53, v14, v46
	;; [unrolled: 1-line block ×3, first 2 shown]
	v_fmac_f16_e32 v28, -0.5, v13
	v_sub_f16_e32 v13, v86, v88
	v_fmac_f16_e32 v29, -0.5, v15
	v_sub_f16_e32 v15, v85, v87
	v_add_f16_e32 v61, v14, v45
	v_add_f16_e32 v14, v30, v44
	v_fmamk_f16 v60, v13, 0x3aee, v28
	v_fmac_f16_e32 v28, 0xbaee, v13
	v_add_f16_e32 v13, v44, v42
	v_fmamk_f16 v62, v15, 0x3aee, v29
	v_fmac_f16_e32 v29, 0xbaee, v15
	v_add_f16_e32 v15, v43, v40
	v_add_f16_e32 v63, v14, v42
	v_fmac_f16_e32 v30, -0.5, v13
	v_sub_f16_e32 v13, v79, v81
	v_add_f16_e32 v14, v31, v43
	v_fmac_f16_e32 v31, -0.5, v15
	v_sub_f16_e32 v15, v80, v82
	v_add_f16_e32 v18, v41, v38
	v_fmamk_f16 v64, v13, 0x3aee, v30
	v_fmac_f16_e32 v30, 0xbaee, v13
	v_add_f16_e32 v13, v32, v41
	v_fmamk_f16 v80, v15, 0x3aee, v31
	v_fmac_f16_e32 v31, 0xbaee, v15
	v_add_f16_e32 v15, v35, v34
	v_fmamk_f16 v52, v19, 0x3aee, v27
	v_add_f16_e32 v38, v13, v38
	v_add_f16_e32 v13, v36, v37
	v_fmac_f16_e32 v27, 0xbaee, v19
	v_add_f16_e32 v79, v14, v40
	v_fmac_f16_e32 v32, -0.5, v18
	v_sub_f16_e32 v14, v77, v78
	v_add_f16_e32 v18, v33, v35
	v_fmac_f16_e32 v33, -0.5, v15
	v_sub_f16_e32 v15, v48, v49
	v_fma_f16 v13, -0.5, v13, v16
	v_sub_f16_e32 v19, v65, v66
	v_fmamk_f16 v77, v14, 0x3aee, v32
	v_fmac_f16_e32 v32, 0xbaee, v14
	v_add_f16_e32 v49, v18, v34
	v_fmamk_f16 v65, v15, 0x3aee, v33
	v_fmac_f16_e32 v33, 0xbaee, v15
	v_fmamk_f16 v14, v19, 0x3aee, v13
	v_fmac_f16_e32 v13, 0xbaee, v19
	s_waitcnt lgkmcnt(0)
	s_barrier
	buffer_gl0_inv
	ds_load_u16 v35, v6 offset:756
	ds_load_u16 v19, v6 offset:882
	ds_load_u16 v23, v6
	ds_load_u16 v22, v6 offset:126
	ds_load_u16 v21, v6 offset:252
	;; [unrolled: 1-line block ×22, first 2 shown]
	s_waitcnt lgkmcnt(0)
	s_barrier
	buffer_gl0_inv
	ds_store_b16 v74, v39
	ds_store_b16 v74, v50 offset:6
	ds_store_b16 v74, v26 offset:12
	ds_store_b16 v76, v51
	ds_store_b16 v76, v52 offset:6
	ds_store_b16 v76, v27 offset:12
	;; [unrolled: 3-line block ×8, first 2 shown]
	s_and_saveexec_b32 s1, s0
	s_cbranch_execz .LBB0_25
; %bb.24:
	v_and_b32_e32 v26, 0xffff, v67
	v_add_f16_e32 v16, v16, v36
	s_delay_alu instid0(VALU_DEP_2) | instskip(NEXT) | instid1(VALU_DEP_2)
	v_lshlrev_b32_e32 v26, 1, v26
	v_add_f16_e32 v16, v16, v37
	s_delay_alu instid0(VALU_DEP_2)
	v_add3_u32 v26, 0, v68, v26
	ds_store_b16 v26, v16
	ds_store_b16 v26, v14 offset:6
	ds_store_b16 v26, v13 offset:12
.LBB0_25:
	s_or_b32 exec_lo, exec_lo, s1
	v_mul_lo_u16 v16, v25, 57
	v_mul_lo_u16 v25, v12, 57
	;; [unrolled: 1-line block ×3, first 2 shown]
	v_mul_u32_u24_e32 v17, 0xe38f, v17
	s_waitcnt lgkmcnt(0)
	v_lshrrev_b16 v33, 9, v16
	v_mul_lo_u16 v16, v10, 57
	v_lshrrev_b16 v49, 9, v25
	v_lshrrev_b16 v51, 9, v26
	v_lshrrev_b32_e32 v17, 19, v17
	v_mul_lo_u16 v25, v33, 9
	v_lshrrev_b16 v50, 9, v16
	v_mul_lo_u16 v16, v49, 9
	s_barrier
	v_mul_lo_u16 v29, v17, 9
	v_sub_nc_u16 v25, v3, v25
	v_mul_lo_u16 v26, v50, 9
	v_sub_nc_u16 v16, v7, v16
	buffer_gl0_inv
	v_and_b32_e32 v33, 0xffff, v33
	v_and_b32_e32 v52, 0xff, v25
	v_sub_nc_u16 v26, v8, v26
	v_mul_lo_u16 v25, v51, 9
	v_and_b32_e32 v53, 0xff, v16
	v_and_b32_e32 v50, 0xffff, v50
	v_lshlrev_b32_e32 v16, 4, v52
	v_and_b32_e32 v60, 0xff, v26
	v_sub_nc_u16 v30, v9, v25
	v_lshlrev_b32_e32 v31, 4, v53
	v_and_b32_e32 v51, 0xffff, v51
	global_load_b128 v[25:28], v16, s[4:5] offset:24
	v_lshlrev_b32_e32 v36, 4, v60
	v_and_b32_e32 v61, 0xff, v30
	v_and_b32_e32 v49, 0xffff, v49
	v_mul_u32_u24_e32 v33, 0x5a, v33
	v_mul_u32_u24_e32 v50, 0x5a, v50
	global_load_b128 v[72:75], v36, s[4:5] offset:24
	v_sub_nc_u16 v16, v0, v29
	global_load_b128 v[29:32], v31, s[4:5] offset:24
	v_mul_u32_u24_e32 v63, 0x5a, v51
	v_lshlrev_b32_e32 v51, 1, v52
	v_lshlrev_b32_e32 v60, 1, v60
	v_and_b32_e32 v62, 0xffff, v16
	v_lshlrev_b32_e32 v16, 4, v61
	v_mul_u32_u24_e32 v17, 0x5a, v17
	v_mul_u32_u24_e32 v49, 0x5a, v49
	v_lshlrev_b32_e32 v52, 1, v53
	v_lshlrev_b32_e32 v36, 4, v62
	;; [unrolled: 1-line block ×3, first 2 shown]
	s_clause 0x1
	global_load_b128 v[92:95], v16, s[4:5] offset:24
	global_load_b128 v[96:99], v36, s[4:5] offset:24
	ds_load_u16 v100, v6 offset:882
	ds_load_u16 v39, v6
	ds_load_u16 v38, v6 offset:126
	ds_load_u16 v37, v6 offset:252
	;; [unrolled: 1-line block ×23, first 2 shown]
	v_lshlrev_b32_e32 v62, 1, v62
	v_add3_u32 v53, 0, v33, v51
	v_add3_u32 v51, 0, v50, v60
	;; [unrolled: 1-line block ×5, first 2 shown]
	s_waitcnt vmcnt(0) lgkmcnt(0)
	s_barrier
	buffer_gl0_inv
	v_cmp_gt_u32_e64 s0, 36, v3
	v_lshrrev_b32_e32 v33, 16, v26
	v_lshrrev_b32_e32 v60, 16, v27
	;; [unrolled: 1-line block ×4, first 2 shown]
	s_delay_alu instid0(VALU_DEP_4)
	v_mul_f16_e32 v81, v88, v33
	v_lshrrev_b32_e32 v66, 16, v72
	v_lshrrev_b32_e32 v67, 16, v73
	;; [unrolled: 1-line block ×8, first 2 shown]
	v_mul_f16_e32 v82, v87, v60
	v_mul_f16_e32 v80, v85, v17
	;; [unrolled: 1-line block ×6, first 2 shown]
	v_lshrrev_b32_e32 v91, 16, v93
	v_lshrrev_b32_e32 v115, 16, v94
	;; [unrolled: 1-line block ×8, first 2 shown]
	v_mul_f16_e32 v125, v54, v64
	v_mul_f16_e32 v79, v111, v65
	;; [unrolled: 1-line block ×6, first 2 shown]
	v_mul_f16_e64 v129, v46, v71
	v_mul_f16_e32 v71, v106, v89
	v_mul_f16_e32 v64, v103, v91
	;; [unrolled: 1-line block ×8, first 2 shown]
	v_mul_f16_e64 v128, v44, v67
	v_mul_f16_e32 v66, v101, v90
	v_mul_f16_e32 v67, v107, v116
	;; [unrolled: 1-line block ×8, first 2 shown]
	v_fmac_f16_e32 v81, v59, v26
	v_fmac_f16_e32 v82, v56, v27
	;; [unrolled: 1-line block ×4, first 2 shown]
	v_mul_f16_e64 v130, v47, v89
	v_mul_f16_e64 v131, v20, v90
	v_mul_f16_e32 v115, v34, v115
	v_mul_f16_e32 v116, v40, v116
	;; [unrolled: 1-line block ×3, first 2 shown]
	v_fmac_f16_e32 v77, v35, v29
	v_fmac_f16_e32 v76, v48, v30
	;; [unrolled: 1-line block ×10, first 2 shown]
	v_mul_f16_e64 v132, v24, v91
	v_mul_f16_e32 v117, v45, v117
	v_mul_f16_e32 v118, v41, v118
	;; [unrolled: 1-line block ×3, first 2 shown]
	v_fmac_f16_e32 v66, v20, v92
	v_fmac_f16_e32 v67, v40, v95
	;; [unrolled: 1-line block ×6, first 2 shown]
	v_fma_f16 v90, v85, v25, -v17
	v_fma_f16 v91, v88, v26, -v33
	;; [unrolled: 1-line block ×3, first 2 shown]
	v_add_f16_e32 v19, v81, v82
	v_fma_f16 v89, v87, v27, -v121
	v_add_f16_e32 v27, v80, v84
	v_fma_f16 v83, v83, v29, -v123
	v_fma_f16 v85, v109, v30, -v124
	;; [unrolled: 1-line block ×12, first 2 shown]
	v_sub_f16_e32 v20, v80, v81
	v_sub_f16_e32 v26, v84, v82
	;; [unrolled: 1-line block ×4, first 2 shown]
	v_add_f16_e32 v30, v22, v77
	v_add_f16_e32 v31, v76, v78
	v_sub_f16_e32 v34, v77, v76
	v_sub_f16_e32 v35, v79, v78
	v_add_f16_e32 v40, v77, v79
	v_sub_f16_e32 v41, v76, v77
	v_sub_f16_e32 v42, v78, v79
	v_add_f16_e32 v44, v68, v69
	v_add_f16_e32 v94, v70, v71
	;; [unrolled: 1-line block ×3, first 2 shown]
	v_fma_f16 v48, v103, v93, -v132
	v_fma_f16 v55, v110, v96, -v117
	;; [unrolled: 1-line block ×4, first 2 shown]
	v_add_f16_e32 v17, v23, v80
	v_add_f16_e32 v103, v66, v67
	;; [unrolled: 1-line block ×4, first 2 shown]
	v_sub_f16_e32 v24, v90, v88
	v_sub_f16_e32 v95, v68, v70
	;; [unrolled: 1-line block ×3, first 2 shown]
	v_fma_f16 v115, -0.5, v19, v23
	v_sub_f16_e32 v25, v91, v89
	v_add_f16_e32 v97, v18, v66
	v_fmac_f16_e32 v23, -0.5, v27
	v_sub_f16_e32 v32, v83, v87
	v_sub_f16_e32 v33, v85, v86
	v_add_f16_e32 v43, v21, v70
	v_sub_f16_e32 v45, v72, v75
	v_sub_f16_e32 v46, v73, v74
	;; [unrolled: 1-line block ×9, first 2 shown]
	v_add_f16_e32 v106, v15, v62
	v_add_f16_e32 v26, v20, v26
	v_add_f16_e32 v27, v28, v29
	v_add_f16_e32 v20, v30, v76
	v_fma_f16 v28, -0.5, v31, v22
	v_add_f16_e32 v29, v34, v35
	v_fmac_f16_e32 v22, -0.5, v40
	v_add_f16_e32 v30, v41, v42
	v_fma_f16 v34, -0.5, v44, v21
	v_fmac_f16_e32 v21, -0.5, v94
	v_fma_f16 v42, -0.5, v98, v18
	v_sub_f16_e32 v100, v48, v58
	v_sub_f16_e32 v108, v55, v54
	;; [unrolled: 1-line block ×3, first 2 shown]
	v_add_f16_e32 v17, v17, v81
	v_fmac_f16_e32 v18, -0.5, v103
	v_fma_f16 v19, -0.5, v107, v15
	v_fmac_f16_e32 v15, -0.5, v112
	v_add_f16_e32 v40, v95, v96
	v_fmamk_f16 v96, v24, 0xbb9c, v115
	v_add_f16_e32 v41, v97, v64
	v_fmamk_f16 v97, v25, 0x3b9c, v23
	v_fmac_f16_e32 v23, 0xbb9c, v25
	v_add_f16_e32 v31, v43, v68
	v_add_f16_e32 v35, v92, v93
	;; [unrolled: 1-line block ×5, first 2 shown]
	v_fmac_f16_e32 v115, 0x3b9c, v24
	v_fmamk_f16 v101, v32, 0xbb9c, v28
	v_fmac_f16_e32 v28, 0x3b9c, v32
	v_fmamk_f16 v102, v33, 0x3b9c, v22
	;; [unrolled: 2-line block ×5, first 2 shown]
	v_fmac_f16_e32 v42, 0x3b9c, v99
	v_sub_f16_e32 v110, v62, v60
	v_sub_f16_e32 v111, v63, v61
	v_sub_f16_e32 v113, v60, v62
	v_sub_f16_e32 v114, v61, v63
	v_add_f16_e32 v95, v17, v82
	v_add_f16_e32 v98, v20, v78
	v_fmamk_f16 v106, v100, 0x3b9c, v18
	v_fmac_f16_e32 v18, 0xbb9c, v100
	v_fmamk_f16 v17, v108, 0xbb9c, v19
	v_fmac_f16_e32 v19, 0x3b9c, v108
	;; [unrolled: 2-line block ×3, first 2 shown]
	v_fmac_f16_e32 v96, 0xb8b4, v25
	v_fmac_f16_e32 v97, 0xb8b4, v24
	;; [unrolled: 1-line block ×3, first 2 shown]
	v_add_f16_e32 v31, v31, v69
	v_add_f16_e32 v41, v41, v65
	;; [unrolled: 1-line block ×3, first 2 shown]
	v_fmac_f16_e32 v115, 0x38b4, v25
	v_fmac_f16_e32 v28, 0x38b4, v33
	;; [unrolled: 1-line block ×6, first 2 shown]
	v_add_f16_e32 v93, v110, v111
	v_add_f16_e32 v94, v113, v114
	;; [unrolled: 1-line block ×3, first 2 shown]
	v_fmac_f16_e32 v101, 0xb8b4, v33
	v_fmac_f16_e32 v102, 0xb8b4, v32
	;; [unrolled: 1-line block ×14, first 2 shown]
	v_add_f16_e32 v24, v98, v79
	v_add_f16_e32 v25, v31, v71
	;; [unrolled: 1-line block ×4, first 2 shown]
	v_fmac_f16_e32 v115, 0x34f2, v26
	v_fmac_f16_e32 v28, 0x34f2, v29
	;; [unrolled: 1-line block ×17, first 2 shown]
	ds_store_b16 v53, v95
	ds_store_b16 v53, v96 offset:18
	ds_store_b16 v53, v97 offset:36
	ds_store_b16 v53, v23 offset:54
	ds_store_b16 v53, v115 offset:72
	ds_store_b16 v52, v24
	ds_store_b16 v52, v101 offset:18
	ds_store_b16 v52, v102 offset:36
	ds_store_b16 v52, v22 offset:54
	ds_store_b16 v52, v28 offset:72
	ds_store_b16 v51, v25
	ds_store_b16 v51, v103 offset:18
	ds_store_b16 v51, v104 offset:36
	ds_store_b16 v51, v21 offset:54
	ds_store_b16 v51, v34 offset:72
	ds_store_b16 v50, v31
	ds_store_b16 v50, v105 offset:18
	ds_store_b16 v50, v106 offset:36
	ds_store_b16 v50, v18 offset:54
	ds_store_b16 v50, v42 offset:72
	ds_store_b16 v49, v32
	ds_store_b16 v49, v17 offset:18
	ds_store_b16 v49, v20 offset:36
	ds_store_b16 v49, v15 offset:54
	ds_store_b16 v49, v19 offset:72
	s_waitcnt lgkmcnt(0)
	s_barrier
	buffer_gl0_inv
	ds_load_u16 v40, v6
	ds_load_u16 v21, v6 offset:126
	ds_load_u16 v23, v6 offset:2376
	;; [unrolled: 1-line block ×20, first 2 shown]
                                        ; implicit-def: $vgpr29
	s_and_saveexec_b32 s1, s0
	s_cbranch_execz .LBB0_27
; %bb.26:
	ds_load_u16 v17, v6 offset:378
	ds_load_u16 v20, v6 offset:828
	;; [unrolled: 1-line block ×7, first 2 shown]
.LBB0_27:
	s_or_b32 exec_lo, exec_lo, s1
	v_add_f16_e32 v18, v91, v89
	v_add_f16_e32 v92, v39, v90
	v_sub_f16_e32 v80, v80, v84
	v_sub_f16_e32 v81, v81, v82
	;; [unrolled: 1-line block ×3, first 2 shown]
	v_fma_f16 v84, -0.5, v18, v39
	v_sub_f16_e32 v18, v88, v89
	v_add_f16_e32 v93, v90, v88
	v_sub_f16_e32 v90, v91, v90
	v_add_f16_e32 v91, v92, v91
	v_fmamk_f16 v92, v80, 0x3b9c, v84
	v_sub_f16_e32 v94, v89, v88
	v_add_f16_e32 v18, v82, v18
	v_fmac_f16_e32 v84, 0xbb9c, v80
	v_add_f16_e32 v82, v91, v89
	v_fmac_f16_e32 v92, 0x38b4, v81
	v_fmac_f16_e32 v39, -0.5, v93
	v_add_f16_e32 v91, v85, v86
	v_fmac_f16_e32 v84, 0xb8b4, v81
	v_add_f16_e32 v82, v82, v88
	v_add_f16_e32 v88, v90, v94
	;; [unrolled: 1-line block ×3, first 2 shown]
	v_fmac_f16_e32 v92, 0x34f2, v18
	v_fmac_f16_e32 v84, 0x34f2, v18
	v_fmamk_f16 v89, v81, 0xbb9c, v39
	v_fma_f16 v91, -0.5, v91, v38
	v_add_f16_e32 v18, v90, v85
	v_add_f16_e32 v90, v83, v87
	v_sub_f16_e32 v77, v77, v79
	v_fmac_f16_e32 v39, 0x3b9c, v81
	v_sub_f16_e32 v76, v76, v78
	v_sub_f16_e32 v78, v83, v85
	;; [unrolled: 1-line block ×3, first 2 shown]
	v_add_f16_e32 v18, v18, v86
	v_fmac_f16_e32 v38, -0.5, v90
	v_fmac_f16_e32 v89, 0x38b4, v80
	v_fmamk_f16 v79, v77, 0x3b9c, v91
	v_fmac_f16_e32 v39, 0xb8b4, v80
	v_add_f16_e32 v78, v78, v81
	v_add_f16_e32 v80, v18, v87
	v_fmac_f16_e32 v91, 0xbb9c, v77
	v_fmamk_f16 v81, v76, 0xbb9c, v38
	v_sub_f16_e32 v18, v85, v83
	v_sub_f16_e32 v83, v86, v87
	v_add_f16_e32 v85, v37, v72
	v_add_f16_e32 v86, v73, v74
	v_fmac_f16_e32 v38, 0x3b9c, v76
	v_fmac_f16_e32 v79, 0x38b4, v76
	;; [unrolled: 1-line block ×4, first 2 shown]
	v_add_f16_e32 v18, v18, v83
	v_add_f16_e32 v76, v85, v73
	v_fma_f16 v83, -0.5, v86, v37
	v_sub_f16_e32 v70, v70, v71
	v_fmac_f16_e32 v38, 0xb8b4, v77
	v_add_f16_e32 v77, v72, v75
	v_fmac_f16_e32 v79, 0x34f2, v78
	v_fmac_f16_e32 v91, 0x34f2, v78
	v_add_f16_e32 v71, v76, v74
	v_fmamk_f16 v76, v70, 0x3b9c, v83
	v_sub_f16_e32 v68, v68, v69
	v_sub_f16_e32 v69, v72, v73
	v_sub_f16_e32 v78, v75, v74
	v_fmac_f16_e32 v37, -0.5, v77
	v_fmac_f16_e32 v83, 0xbb9c, v70
	v_fmac_f16_e32 v81, 0x34f2, v18
	;; [unrolled: 1-line block ×4, first 2 shown]
	v_add_f16_e32 v18, v69, v78
	v_fmamk_f16 v69, v68, 0xbb9c, v37
	v_sub_f16_e32 v72, v73, v72
	v_sub_f16_e32 v73, v74, v75
	v_fmac_f16_e32 v83, 0xb8b4, v68
	v_add_f16_e32 v74, v48, v58
	v_fmac_f16_e32 v37, 0x3b9c, v68
	v_add_f16_e32 v68, v36, v47
	;; [unrolled: 2-line block ×3, first 2 shown]
	v_fma_f16 v73, -0.5, v74, v36
	v_sub_f16_e32 v66, v66, v67
	v_fmac_f16_e32 v83, 0x34f2, v18
	v_add_f16_e32 v18, v68, v48
	v_fmac_f16_e32 v69, 0x38b4, v70
	v_fmac_f16_e32 v37, 0xb8b4, v70
	v_fmamk_f16 v67, v66, 0x3b9c, v73
	v_sub_f16_e32 v64, v64, v65
	v_sub_f16_e32 v65, v47, v48
	;; [unrolled: 1-line block ×3, first 2 shown]
	v_fmac_f16_e32 v73, 0xbb9c, v66
	v_add_f16_e32 v70, v47, v59
	v_add_f16_e32 v18, v18, v58
	v_fmac_f16_e32 v67, 0x38b4, v64
	v_add_f16_e32 v65, v65, v68
	v_fmac_f16_e32 v73, 0xb8b4, v64
	v_fmac_f16_e32 v36, -0.5, v70
	v_add_f16_e32 v68, v18, v59
	v_sub_f16_e32 v48, v48, v47
	v_sub_f16_e32 v58, v58, v59
	v_add_f16_e32 v59, v16, v55
	v_fmac_f16_e32 v67, 0x34f2, v65
	v_fmac_f16_e32 v73, 0x34f2, v65
	v_fmamk_f16 v65, v64, 0xbb9c, v36
	v_add_f16_e32 v18, v56, v57
	v_fmac_f16_e32 v36, 0x3b9c, v64
	v_add_f16_e32 v48, v48, v58
	v_add_f16_e32 v58, v59, v56
	v_add_f16_e32 v59, v55, v54
	v_fma_f16 v47, -0.5, v18, v16
	v_sub_f16_e32 v62, v62, v63
	v_fmac_f16_e32 v65, 0x38b4, v66
	v_fmac_f16_e32 v36, 0xb8b4, v66
	v_sub_f16_e32 v60, v60, v61
	v_fmac_f16_e32 v16, -0.5, v59
	v_fmamk_f16 v18, v62, 0x3b9c, v47
	v_fmac_f16_e32 v65, 0x34f2, v48
	v_fmac_f16_e32 v36, 0x34f2, v48
	v_sub_f16_e32 v59, v55, v56
	v_sub_f16_e32 v61, v54, v57
	v_fmac_f16_e32 v47, 0xbb9c, v62
	v_fmamk_f16 v48, v60, 0xbb9c, v16
	v_sub_f16_e32 v55, v56, v55
	v_sub_f16_e32 v56, v57, v54
	v_fmac_f16_e32 v16, 0x3b9c, v60
	v_add_f16_e32 v58, v58, v57
	v_fmac_f16_e32 v18, 0x38b4, v60
	v_add_f16_e32 v57, v59, v61
	v_fmac_f16_e32 v47, 0xb8b4, v60
	v_fmac_f16_e32 v48, 0x38b4, v62
	v_add_f16_e32 v55, v55, v56
	v_fmac_f16_e32 v16, 0xb8b4, v62
	v_fmac_f16_e32 v89, 0x34f2, v88
	;; [unrolled: 1-line block ×5, first 2 shown]
	v_add_f16_e32 v54, v58, v54
	v_add_f16_e32 v71, v71, v75
	v_fmac_f16_e32 v18, 0x34f2, v57
	v_fmac_f16_e32 v47, 0x34f2, v57
	;; [unrolled: 1-line block ×4, first 2 shown]
	s_waitcnt lgkmcnt(0)
	s_barrier
	buffer_gl0_inv
	ds_store_b16 v53, v82
	ds_store_b16 v53, v92 offset:18
	ds_store_b16 v53, v89 offset:36
	ds_store_b16 v53, v39 offset:54
	ds_store_b16 v53, v84 offset:72
	ds_store_b16 v52, v80
	ds_store_b16 v52, v79 offset:18
	ds_store_b16 v52, v81 offset:36
	ds_store_b16 v52, v38 offset:54
	ds_store_b16 v52, v91 offset:72
	;; [unrolled: 5-line block ×5, first 2 shown]
	s_waitcnt lgkmcnt(0)
	s_barrier
	buffer_gl0_inv
	ds_load_u16 v38, v6
	ds_load_u16 v37, v6 offset:126
	ds_load_u16 v55, v6 offset:576
	;; [unrolled: 1-line block ×20, first 2 shown]
                                        ; implicit-def: $vgpr57
	s_and_saveexec_b32 s1, s0
	s_cbranch_execz .LBB0_29
; %bb.28:
	ds_load_u16 v18, v6 offset:378
	ds_load_u16 v48, v6 offset:828
	;; [unrolled: 1-line block ×7, first 2 shown]
.LBB0_29:
	s_or_b32 exec_lo, exec_lo, s1
	v_subrev_nc_u32_e32 v59, 45, v3
	v_cmp_gt_u32_e64 s1, 45, v3
	v_mul_lo_u16 v12, 0x6d, v12
	v_mov_b32_e32 v71, 0
	v_mul_lo_u16 v10, 0x6d, v10
	v_mul_lo_u16 v4, 0x6d, v4
	v_cndmask_b32_e64 v59, v59, v3, s1
	v_lshrrev_b16 v12, 8, v12
	s_delay_alu instid0(VALU_DEP_4) | instskip(NEXT) | instid1(VALU_DEP_4)
	v_lshrrev_b16 v10, 8, v10
	v_lshrrev_b16 v4, 8, v4
	s_delay_alu instid0(VALU_DEP_4) | instskip(NEXT) | instid1(VALU_DEP_4)
	v_mul_i32_i24_e32 v70, 6, v59
	v_sub_nc_u16 v61, v7, v12
	v_lshlrev_b32_e32 v59, 1, v59
	v_sub_nc_u16 v63, v8, v10
	s_delay_alu instid0(VALU_DEP_4) | instskip(NEXT) | instid1(VALU_DEP_4)
	v_lshlrev_b64 v[70:71], 2, v[70:71]
	v_lshrrev_b16 v61, 1, v61
	s_delay_alu instid0(VALU_DEP_3) | instskip(NEXT) | instid1(VALU_DEP_2)
	v_lshrrev_b16 v63, 1, v63
	v_and_b32_e32 v61, 0x7f, v61
	s_delay_alu instid0(VALU_DEP_4) | instskip(NEXT) | instid1(VALU_DEP_1)
	v_add_co_u32 v70, s1, s4, v70
	v_add_co_ci_u32_e64 v71, s1, s5, v71, s1
	s_delay_alu instid0(VALU_DEP_3)
	v_add_nc_u16 v12, v61, v12
	v_and_b32_e32 v61, 0x7f, v63
	v_cmp_lt_u32_e64 s1, 44, v3
	s_clause 0x1
	global_load_b128 v[74:77], v[70:71], off offset:168
	global_load_b64 v[78:79], v[70:71], off offset:184
	v_sub_nc_u16 v70, v9, v4
	v_lshrrev_b16 v12, 5, v12
	v_add_nc_u16 v10, v61, v10
	s_delay_alu instid0(VALU_DEP_3) | instskip(NEXT) | instid1(VALU_DEP_2)
	v_lshrrev_b16 v63, 1, v70
	v_lshrrev_b16 v10, 5, v10
	s_delay_alu instid0(VALU_DEP_2) | instskip(SKIP_2) | instid1(VALU_DEP_3)
	v_and_b32_e32 v61, 0x7f, v63
	v_mul_lo_u16 v63, v12, 45
	v_and_b32_e32 v12, 0xffff, v12
	v_add_nc_u16 v4, v61, v4
	s_delay_alu instid0(VALU_DEP_3)
	v_sub_nc_u16 v61, v7, v63
	v_mul_lo_u16 v63, v10, 45
	v_and_b32_e32 v10, 0xffff, v10
	v_mul_u32_u24_e32 v12, 0x276, v12
	v_lshrrev_b16 v4, 5, v4
	v_and_b32_e32 v61, 0xff, v61
	v_sub_nc_u16 v63, v8, v63
	v_mul_u32_u24_e32 v10, 0x276, v10
	s_delay_alu instid0(VALU_DEP_4) | instskip(NEXT) | instid1(VALU_DEP_4)
	v_mul_lo_u16 v4, v4, 45
	v_mul_u32_u24_e32 v70, 6, v61
	s_delay_alu instid0(VALU_DEP_4) | instskip(NEXT) | instid1(VALU_DEP_3)
	v_and_b32_e32 v63, 0xff, v63
	v_sub_nc_u16 v4, v9, v4
	s_delay_alu instid0(VALU_DEP_3) | instskip(NEXT) | instid1(VALU_DEP_3)
	v_lshlrev_b32_e32 v70, 2, v70
	v_mul_u32_u24_e32 v71, 6, v63
	s_delay_alu instid0(VALU_DEP_3)
	v_and_b32_e32 v4, 0xff, v4
	global_load_b128 v[86:89], v70, s[4:5] offset:168
	v_lshlrev_b32_e32 v71, 2, v71
	s_clause 0x1
	global_load_b64 v[98:99], v70, s[4:5] offset:184
	global_load_b128 v[90:93], v71, s[4:5] offset:168
	v_mul_u32_u24_e32 v72, 6, v4
	v_lshl_add_u32 v4, v4, 1, 0
	s_delay_alu instid0(VALU_DEP_2)
	v_lshlrev_b32_e32 v70, 2, v72
	s_clause 0x2
	global_load_b64 v[100:101], v71, s[4:5] offset:184
	global_load_b128 v[94:97], v70, s[4:5] offset:168
	global_load_b64 v[102:103], v70, s[4:5] offset:184
	v_cndmask_b32_e64 v70, 0, 0x276, s1
	v_lshlrev_b32_e32 v71, 1, v61
	v_lshlrev_b32_e32 v72, 1, v63
	s_waitcnt vmcnt(0) lgkmcnt(0)
	s_barrier
	v_add3_u32 v61, 0, v70, v59
	v_add3_u32 v63, 0, v12, v71
	;; [unrolled: 1-line block ×3, first 2 shown]
	buffer_gl0_inv
	v_lshrrev_b32_e32 v10, 16, v74
	v_lshrrev_b32_e32 v70, 16, v75
	v_lshrrev_b32_e32 v71, 16, v76
	v_lshrrev_b32_e32 v72, 16, v77
	v_lshrrev_b32_e32 v73, 16, v78
	v_lshrrev_b32_e32 v80, 16, v79
	v_mul_f16_e32 v12, v67, v10
	v_mul_f16_e32 v81, v43, v10
	v_mul_f16_e32 v10, v65, v70
	v_mul_f16_e32 v82, v41, v70
	v_mul_f16_e32 v70, v68, v71
	v_mul_f16_e32 v83, v45, v71
	v_mul_f16_e32 v71, v66, v72
	v_mul_f16_e32 v84, v44, v72
	v_mul_f16_e32 v72, v64, v73
	v_mul_f16_e32 v85, v42, v73
	v_mul_f16_e32 v73, v69, v80
	v_mul_f16_e32 v80, v46, v80
	v_fmac_f16_e32 v12, v43, v74
	v_fma_f16 v67, v67, v74, -v81
	v_fmac_f16_e32 v10, v41, v75
	v_fma_f16 v74, v65, v75, -v82
	;; [unrolled: 2-line block ×3, first 2 shown]
	v_fmac_f16_e32 v71, v44, v77
	v_fmac_f16_e32 v73, v46, v79
	v_fmac_f16_e32 v72, v42, v78
	v_fma_f16 v68, v69, v79, -v80
	v_fma_f16 v66, v66, v77, -v84
	;; [unrolled: 1-line block ×3, first 2 shown]
	v_add_f16_e32 v41, v12, v73
	v_add_f16_e32 v42, v10, v72
	v_sub_f16_e32 v43, v67, v68
	v_add_f16_e32 v44, v70, v71
	v_sub_f16_e32 v45, v74, v64
	v_sub_f16_e32 v46, v66, v65
	v_add_f16_e32 v69, v42, v41
	v_sub_f16_e32 v75, v42, v41
	v_sub_f16_e32 v41, v41, v44
	v_sub_f16_e32 v42, v44, v42
	v_add_f16_e32 v76, v46, v45
	v_sub_f16_e32 v77, v46, v45
	v_sub_f16_e32 v45, v45, v43
	;; [unrolled: 1-line block ×3, first 2 shown]
	v_add_f16_e32 v44, v44, v69
	v_add_f16_e32 v43, v76, v43
	v_mul_f16_e32 v41, 0x3a52, v41
	v_mul_f16_e32 v69, 0x2b26, v42
	;; [unrolled: 1-line block ×4, first 2 shown]
	v_add_f16_e32 v104, v40, v44
	v_fmamk_f16 v105, v42, 0x2b26, v41
	v_fma_f16 v106, v75, 0x39e0, -v69
	v_fma_f16 v107, v75, 0xb9e0, -v41
	v_fmamk_f16 v108, v46, 0xb574, v76
	v_fma_f16 v110, v46, 0x3574, -v77
	v_lshrrev_b32_e32 v40, 16, v86
	v_lshrrev_b32_e32 v41, 16, v87
	;; [unrolled: 1-line block ×4, first 2 shown]
	v_fma_f16 v109, v45, 0xbb00, -v76
	v_lshrrev_b32_e32 v42, 16, v88
	v_lshrrev_b32_e32 v45, 16, v89
	;; [unrolled: 1-line block ×9, first 2 shown]
	v_mul_f16_e32 v81, v55, v40
	v_mul_f16_e32 v80, v53, v41
	v_mul_f16_e32 v84, v39, v46
	v_mul_f16_e32 v85, v62, v69
	v_lshrrev_b32_e32 v115, 16, v97
	v_fmamk_f16 v118, v44, 0xbcab, v104
	v_lshrrev_b32_e32 v116, 16, v102
	v_lshrrev_b32_e32 v114, 16, v96
	;; [unrolled: 1-line block ×4, first 2 shown]
	v_mul_f16_e32 v119, v32, v40
	v_mul_f16_e32 v120, v26, v41
	;; [unrolled: 1-line block ×17, first 2 shown]
	v_mul_f16_e64 v128, v31, v79
	v_mul_f16_e32 v79, v54, v111
	v_mul_f16_e32 v40, v48, v112
	v_fmac_f16_e32 v81, v32, v86
	v_fmac_f16_e32 v80, v26, v87
	;; [unrolled: 1-line block ×7, first 2 shown]
	v_mul_f16_e32 v43, v14, v115
	v_add_f16_e32 v105, v105, v118
	v_mul_f16_e32 v44, v13, v116
	v_mul_f16_e32 v116, v5, v116
	v_add_f16_e32 v107, v107, v118
	v_mul_f16_e32 v42, v47, v114
	v_mul_f16_e32 v114, v19, v114
	;; [unrolled: 1-line block ×3, first 2 shown]
	v_add_f16_e32 v106, v106, v118
	v_mul_f16_e32 v111, v28, v111
	v_mul_f16_e32 v41, v16, v113
	;; [unrolled: 1-line block ×3, first 2 shown]
	v_fma_f16 v55, v55, v86, -v119
	v_fma_f16 v53, v53, v87, -v120
	v_fmac_f16_e32 v82, v34, v88
	v_fma_f16 v32, v52, v88, -v121
	v_fmac_f16_e32 v83, v33, v89
	v_fma_f16 v33, v51, v89, -v122
	v_fma_f16 v34, v39, v98, -v46
	;; [unrolled: 1-line block ×3, first 2 shown]
	v_fmac_f16_e32 v69, v24, v90
	v_fmac_f16_e32 v75, v30, v91
	;; [unrolled: 1-line block ×4, first 2 shown]
	v_mul_f16_e32 v112, v20, v112
	v_mul_f16_e32 v113, v15, v113
	v_fmac_f16_e32 v40, v20, v94
	v_add_f16_e32 v20, v81, v85
	v_add_f16_e32 v30, v80, v84
	v_fmac_f16_e32 v43, v11, v97
	v_add_f16_e32 v11, v108, v105
	v_fmac_f16_e32 v44, v5, v102
	v_fma_f16 v5, v13, v102, -v116
	v_add_f16_e32 v13, v110, v107
	v_fma_f16 v39, v47, v96, -v114
	v_fma_f16 v47, v14, v97, -v115
	v_sub_f16_e32 v14, v106, v109
	v_mul_f16_e32 v117, v29, v117
	v_fma_f16 v24, v49, v90, -v124
	v_fma_f16 v26, v60, v91, -v125
	v_fmac_f16_e32 v76, v27, v92
	v_fma_f16 v23, v56, v92, -v126
	v_fmac_f16_e32 v77, v25, v93
	v_fma_f16 v25, v50, v93, -v127
	v_fma_f16 v27, v58, v100, -v128
	;; [unrolled: 1-line block ×3, first 2 shown]
	v_fmac_f16_e32 v41, v15, v95
	v_fmac_f16_e32 v45, v29, v103
	v_add_f16_e32 v15, v109, v106
	v_sub_f16_e32 v29, v55, v35
	v_sub_f16_e32 v31, v53, v34
	v_add_f16_e32 v50, v82, v83
	v_sub_f16_e32 v51, v33, v32
	v_add_f16_e32 v52, v69, v79
	v_add_f16_e32 v56, v75, v78
	v_fma_f16 v46, v48, v94, -v112
	v_fma_f16 v48, v16, v95, -v113
	v_fmac_f16_e32 v42, v19, v96
	v_sub_f16_e32 v16, v107, v110
	v_sub_f16_e32 v19, v105, v108
	ds_store_b16 v61, v104
	ds_store_b16 v61, v11 offset:90
	ds_store_b16 v61, v13 offset:180
	ds_store_b16 v61, v14 offset:270
	ds_store_b16 v61, v15 offset:360
	ds_store_b16 v61, v16 offset:450
	ds_store_b16 v61, v19 offset:540
	v_add_f16_e32 v11, v30, v20
	v_fma_f16 v49, v57, v103, -v117
	v_sub_f16_e32 v54, v24, v28
	v_sub_f16_e32 v57, v26, v27
	v_add_f16_e32 v58, v76, v77
	v_sub_f16_e32 v60, v25, v23
	v_sub_f16_e32 v13, v30, v20
	;; [unrolled: 1-line block ×4, first 2 shown]
	v_add_f16_e32 v16, v51, v31
	v_sub_f16_e32 v19, v51, v31
	v_sub_f16_e32 v30, v31, v29
	v_add_f16_e32 v31, v56, v52
	v_add_f16_e32 v11, v50, v11
	v_sub_f16_e32 v20, v29, v51
	v_sub_f16_e32 v51, v56, v52
	;; [unrolled: 1-line block ×4, first 2 shown]
	v_add_f16_e32 v62, v60, v57
	v_sub_f16_e32 v86, v60, v57
	v_sub_f16_e32 v57, v57, v54
	v_add_f16_e32 v16, v16, v29
	v_mul_f16_e32 v14, 0x3a52, v14
	v_mul_f16_e32 v29, 0x2b26, v15
	;; [unrolled: 1-line block ×4, first 2 shown]
	v_add_f16_e32 v31, v58, v31
	v_add_f16_e32 v21, v21, v11
	v_sub_f16_e32 v60, v54, v60
	v_add_f16_e32 v54, v62, v54
	v_mul_f16_e32 v52, 0x3a52, v52
	v_mul_f16_e32 v58, 0x2b26, v56
	;; [unrolled: 1-line block ×4, first 2 shown]
	v_fmamk_f16 v15, v15, 0x2b26, v14
	v_fma_f16 v29, v13, 0x39e0, -v29
	v_fma_f16 v13, v13, 0xb9e0, -v14
	v_fmamk_f16 v14, v20, 0xb574, v19
	v_fma_f16 v19, v30, 0xbb00, -v19
	v_fma_f16 v20, v20, 0x3574, -v50
	v_add_f16_e32 v22, v22, v31
	v_fmamk_f16 v11, v11, 0xbcab, v21
	v_fmamk_f16 v30, v56, 0x2b26, v52
	v_fma_f16 v50, v51, 0x39e0, -v58
	v_fma_f16 v51, v51, 0xb9e0, -v52
	v_fmamk_f16 v52, v60, 0xb574, v62
	v_fma_f16 v56, v57, 0xbb00, -v62
	v_fma_f16 v57, v60, 0x3574, -v86
	v_fmac_f16_e32 v14, 0xb70e, v16
	v_fmac_f16_e32 v19, 0xb70e, v16
	v_fmac_f16_e32 v20, 0xb70e, v16
	v_fmamk_f16 v16, v31, 0xbcab, v22
	v_add_f16_e32 v15, v15, v11
	v_add_f16_e32 v29, v29, v11
	v_add_f16_e32 v11, v13, v11
	v_fmac_f16_e32 v52, 0xb70e, v54
	v_fmac_f16_e32 v56, 0xb70e, v54
	;; [unrolled: 1-line block ×3, first 2 shown]
	v_add_f16_e32 v13, v30, v16
	v_add_f16_e32 v30, v50, v16
	;; [unrolled: 1-line block ×5, first 2 shown]
	v_sub_f16_e32 v51, v29, v19
	v_add_f16_e32 v19, v19, v29
	v_sub_f16_e32 v11, v11, v20
	v_sub_f16_e32 v14, v15, v14
	v_add_f16_e32 v15, v52, v13
	v_add_f16_e32 v20, v57, v16
	v_sub_f16_e32 v29, v30, v56
	v_add_f16_e32 v30, v56, v30
	v_sub_f16_e32 v16, v16, v57
	v_sub_f16_e32 v13, v13, v52
	ds_store_b16 v63, v21
	ds_store_b16 v63, v31 offset:90
	ds_store_b16 v63, v50 offset:180
	;; [unrolled: 1-line block ×6, first 2 shown]
	ds_store_b16 v59, v22
	ds_store_b16 v59, v15 offset:90
	ds_store_b16 v59, v20 offset:180
	;; [unrolled: 1-line block ×6, first 2 shown]
	s_and_saveexec_b32 s1, s0
	s_cbranch_execz .LBB0_31
; %bb.30:
	v_add_f16_e32 v11, v40, v45
	v_add_f16_e32 v13, v41, v44
	;; [unrolled: 1-line block ×3, first 2 shown]
	v_sub_f16_e32 v16, v47, v39
	v_sub_f16_e32 v20, v48, v5
	;; [unrolled: 1-line block ×3, first 2 shown]
	v_add_f16_e32 v19, v13, v11
	v_sub_f16_e32 v21, v11, v14
	v_sub_f16_e32 v22, v14, v13
	;; [unrolled: 1-line block ×4, first 2 shown]
	v_add_f16_e32 v14, v14, v19
	v_sub_f16_e32 v19, v16, v20
	v_add_f16_e32 v16, v16, v20
	v_sub_f16_e32 v20, v20, v15
	v_mul_f16_e32 v13, 0x3a52, v21
	v_add_f16_e32 v17, v17, v14
	v_mul_f16_e32 v19, 0x3846, v19
	v_add_f16_e32 v15, v16, v15
	v_mul_f16_e32 v21, 0xbb00, v20
	v_fmamk_f16 v16, v22, 0x2b26, v13
	v_mul_f16_e32 v22, 0x2b26, v22
	v_fmamk_f16 v14, v14, 0xbcab, v17
	v_fmamk_f16 v30, v29, 0xb574, v19
	v_fma_f16 v13, v11, 0xb9e0, -v13
	v_fma_f16 v21, v29, 0x3574, -v21
	;; [unrolled: 1-line block ×4, first 2 shown]
	v_add_f16_e32 v16, v16, v14
	v_fmac_f16_e32 v30, 0xb70e, v15
	v_add_f16_e32 v13, v13, v14
	v_fmac_f16_e32 v21, 0xb70e, v15
	v_fmac_f16_e32 v19, 0xb70e, v15
	v_add_f16_e32 v11, v11, v14
	v_sub_f16_e32 v14, v16, v30
	v_add_f16_e32 v16, v30, v16
	v_sub_f16_e32 v15, v13, v21
	;; [unrolled: 2-line block ×3, first 2 shown]
	v_add_f16_e32 v11, v19, v11
	ds_store_b16 v4, v17 offset:2520
	ds_store_b16 v4, v16 offset:2610
	;; [unrolled: 1-line block ×7, first 2 shown]
.LBB0_31:
	s_or_b32 exec_lo, exec_lo, s1
	v_add_f16_e32 v11, v67, v68
	v_add_f16_e32 v13, v74, v64
	;; [unrolled: 1-line block ×3, first 2 shown]
	v_sub_f16_e32 v10, v10, v72
	v_sub_f16_e32 v15, v71, v70
	;; [unrolled: 1-line block ×3, first 2 shown]
	v_add_f16_e32 v16, v13, v11
	v_sub_f16_e32 v17, v13, v11
	v_sub_f16_e32 v11, v11, v14
	;; [unrolled: 1-line block ×3, first 2 shown]
	v_add_f16_e32 v19, v15, v10
	v_add_f16_e32 v14, v14, v16
	v_sub_f16_e32 v16, v15, v10
	v_sub_f16_e32 v15, v12, v15
	;; [unrolled: 1-line block ×3, first 2 shown]
	v_add_f16_e32 v12, v19, v12
	v_add_f16_e32 v38, v38, v14
	v_mul_f16_e32 v19, 0x2b26, v13
	v_mul_f16_e32 v16, 0x3846, v16
	;; [unrolled: 1-line block ×4, first 2 shown]
	v_fmamk_f16 v14, v14, 0xbcab, v38
	v_fma_f16 v19, v17, 0x39e0, -v19
	v_fma_f16 v10, v10, 0xbb00, -v16
	v_fmamk_f16 v13, v13, 0x2b26, v11
	v_fma_f16 v11, v17, 0xb9e0, -v11
	v_fmamk_f16 v17, v15, 0xb574, v16
	v_fma_f16 v15, v15, 0x3574, -v20
	v_add_f16_e32 v16, v19, v14
	v_fmac_f16_e32 v10, 0xb70e, v12
	v_sub_f16_e32 v19, v80, v84
	v_fmac_f16_e32 v17, 0xb70e, v12
	v_fmac_f16_e32 v15, 0xb70e, v12
	v_add_f16_e32 v12, v53, v34
	v_add_f16_e32 v52, v10, v16
	v_sub_f16_e32 v54, v16, v10
	v_add_f16_e32 v10, v55, v35
	v_add_f16_e32 v16, v32, v33
	v_sub_f16_e32 v20, v83, v82
	v_add_f16_e32 v13, v13, v14
	v_add_f16_e32 v11, v11, v14
	;; [unrolled: 1-line block ×3, first 2 shown]
	v_sub_f16_e32 v14, v81, v85
	v_sub_f16_e32 v22, v12, v10
	;; [unrolled: 1-line block ×4, first 2 shown]
	v_add_f16_e32 v29, v20, v19
	v_add_f16_e32 v16, v16, v21
	v_sub_f16_e32 v21, v20, v19
	v_sub_f16_e32 v20, v14, v20
	;; [unrolled: 1-line block ×3, first 2 shown]
	v_add_f16_e32 v14, v29, v14
	v_add_f16_e32 v37, v37, v16
	v_mul_f16_e32 v29, 0x2b26, v12
	v_mul_f16_e32 v21, 0x3846, v21
	;; [unrolled: 1-line block ×4, first 2 shown]
	v_fmamk_f16 v16, v16, 0xbcab, v37
	v_fma_f16 v29, v22, 0x39e0, -v29
	v_fma_f16 v19, v19, 0xbb00, -v21
	v_sub_f16_e32 v50, v13, v17
	v_sub_f16_e32 v51, v11, v15
	v_fmamk_f16 v12, v12, 0x2b26, v10
	v_fma_f16 v10, v22, 0xb9e0, -v10
	v_fmamk_f16 v22, v20, 0xb574, v21
	v_fma_f16 v20, v20, 0x3574, -v30
	v_add_f16_e32 v21, v29, v16
	v_fmac_f16_e32 v19, 0xb70e, v14
	v_add_f16_e32 v53, v15, v11
	v_add_f16_e32 v55, v17, v13
	;; [unrolled: 1-line block ×6, first 2 shown]
	v_fmac_f16_e32 v22, 0xb70e, v14
	v_fmac_f16_e32 v20, 0xb70e, v14
	v_add_f16_e32 v58, v19, v21
	v_sub_f16_e32 v60, v21, v19
	v_sub_f16_e32 v14, v69, v79
	v_add_f16_e32 v15, v23, v25
	v_sub_f16_e32 v16, v75, v78
	v_sub_f16_e32 v17, v77, v76
	;; [unrolled: 3-line block ×3, first 2 shown]
	v_sub_f16_e32 v13, v15, v13
	v_add_f16_e32 v23, v17, v16
	v_add_f16_e32 v15, v15, v19
	v_sub_f16_e32 v19, v17, v16
	v_sub_f16_e32 v16, v16, v14
	;; [unrolled: 1-line block ×3, first 2 shown]
	v_add_f16_e32 v14, v23, v14
	v_add_f16_e32 v36, v36, v15
	v_mul_f16_e32 v11, 0x3a52, v11
	v_mul_f16_e32 v23, 0x2b26, v13
	;; [unrolled: 1-line block ×4, first 2 shown]
	v_fmamk_f16 v15, v15, 0xbcab, v36
	v_fmamk_f16 v13, v13, 0x2b26, v11
	v_fma_f16 v23, v21, 0x39e0, -v23
	v_fma_f16 v11, v21, 0xb9e0, -v11
	v_fmamk_f16 v21, v17, 0xb574, v19
	v_fma_f16 v16, v16, 0xbb00, -v19
	v_fma_f16 v17, v17, 0x3574, -v24
	v_add_f16_e32 v13, v13, v15
	v_add_f16_e32 v19, v23, v15
	;; [unrolled: 1-line block ×3, first 2 shown]
	v_fmac_f16_e32 v21, 0xb70e, v14
	v_fmac_f16_e32 v17, 0xb70e, v14
	;; [unrolled: 1-line block ×3, first 2 shown]
	v_sub_f16_e32 v56, v12, v22
	v_sub_f16_e32 v57, v10, v20
	v_add_f16_e32 v62, v20, v10
	v_add_f16_e32 v64, v22, v12
	v_sub_f16_e32 v65, v13, v21
	v_sub_f16_e32 v66, v11, v17
	v_add_f16_e32 v67, v16, v19
	v_sub_f16_e32 v68, v19, v16
	v_add_f16_e32 v69, v17, v11
	v_add_f16_e32 v70, v21, v13
	s_waitcnt lgkmcnt(0)
	s_barrier
	buffer_gl0_inv
	ds_load_u16 v17, v6 offset:756
	ds_load_u16 v23, v6 offset:882
	ds_load_u16 v10, v6
	ds_load_u16 v11, v6 offset:126
	ds_load_u16 v16, v6 offset:252
	;; [unrolled: 1-line block ×22, first 2 shown]
	s_waitcnt lgkmcnt(0)
	s_barrier
	buffer_gl0_inv
	ds_store_b16 v61, v38
	ds_store_b16 v61, v50 offset:90
	ds_store_b16 v61, v51 offset:180
	ds_store_b16 v61, v52 offset:270
	ds_store_b16 v61, v54 offset:360
	ds_store_b16 v61, v53 offset:450
	ds_store_b16 v61, v55 offset:540
	ds_store_b16 v63, v37
	ds_store_b16 v63, v56 offset:90
	ds_store_b16 v63, v57 offset:180
	ds_store_b16 v63, v58 offset:270
	ds_store_b16 v63, v60 offset:360
	ds_store_b16 v63, v62 offset:450
	ds_store_b16 v63, v64 offset:540
	;; [unrolled: 7-line block ×3, first 2 shown]
	s_and_saveexec_b32 s1, s0
	s_cbranch_execz .LBB0_33
; %bb.32:
	v_add_f16_e32 v36, v46, v49
	v_add_f16_e32 v5, v48, v5
	v_sub_f16_e32 v37, v40, v45
	v_add_f16_e32 v38, v39, v47
	v_sub_f16_e32 v39, v41, v44
	v_sub_f16_e32 v40, v43, v42
	v_add_f16_e32 v41, v5, v36
	v_sub_f16_e32 v42, v5, v36
	v_sub_f16_e32 v36, v36, v38
	;; [unrolled: 1-line block ×3, first 2 shown]
	v_add_f16_e32 v43, v40, v39
	v_add_f16_e32 v38, v38, v41
	v_sub_f16_e32 v41, v40, v39
	v_sub_f16_e32 v39, v39, v37
	;; [unrolled: 1-line block ×3, first 2 shown]
	v_add_f16_e32 v37, v43, v37
	v_add_f16_e32 v18, v18, v38
	v_mul_f16_e32 v36, 0x3a52, v36
	v_mul_f16_e32 v43, 0x2b26, v5
	;; [unrolled: 1-line block ×4, first 2 shown]
	v_fmamk_f16 v38, v38, 0xbcab, v18
	v_fmamk_f16 v5, v5, 0x2b26, v36
	v_fma_f16 v43, v42, 0x39e0, -v43
	v_fma_f16 v36, v42, 0xb9e0, -v36
	v_fmamk_f16 v42, v40, 0xb574, v41
	v_fma_f16 v40, v40, 0x3574, -v44
	v_fma_f16 v39, v39, 0xbb00, -v41
	v_add_f16_e32 v5, v5, v38
	v_add_f16_e32 v36, v36, v38
	v_fmac_f16_e32 v42, 0xb70e, v37
	v_fmac_f16_e32 v40, 0xb70e, v37
	v_add_f16_e32 v41, v43, v38
	v_fmac_f16_e32 v39, 0xb70e, v37
	s_delay_alu instid0(VALU_DEP_4) | instskip(NEXT) | instid1(VALU_DEP_4)
	v_sub_f16_e32 v37, v5, v42
	v_sub_f16_e32 v38, v36, v40
	v_add_f16_e32 v36, v40, v36
	s_delay_alu instid0(VALU_DEP_4)
	v_add_f16_e32 v43, v39, v41
	v_sub_f16_e32 v39, v41, v39
	v_add_f16_e32 v5, v42, v5
	ds_store_b16 v4, v18 offset:2520
	ds_store_b16 v4, v37 offset:2610
	;; [unrolled: 1-line block ×7, first 2 shown]
.LBB0_33:
	s_or_b32 exec_lo, exec_lo, s1
	s_waitcnt lgkmcnt(0)
	s_barrier
	buffer_gl0_inv
	s_and_saveexec_b32 s0, vcc_lo
	s_cbranch_execz .LBB0_35
; %bb.34:
	v_dual_mov_b32 v5, 0 :: v_dual_lshlrev_b32 v4, 2, v0
	s_delay_alu instid0(VALU_DEP_1) | instskip(SKIP_1) | instid1(VALU_DEP_1)
	v_lshlrev_b64 v[36:37], 2, v[4:5]
	v_lshlrev_b32_e32 v4, 2, v9
	v_lshlrev_b64 v[40:41], 2, v[4:5]
	v_lshlrev_b32_e32 v4, 2, v8
	s_delay_alu instid0(VALU_DEP_4) | instskip(SKIP_1) | instid1(VALU_DEP_3)
	v_add_co_u32 v36, vcc_lo, s4, v36
	v_add_co_ci_u32_e32 v37, vcc_lo, s5, v37, vcc_lo
	v_lshlrev_b64 v[8:9], 2, v[4:5]
	v_add_co_u32 v40, vcc_lo, s4, v40
	v_add_co_ci_u32_e32 v41, vcc_lo, s5, v41, vcc_lo
	v_lshlrev_b32_e32 v4, 2, v7
	s_delay_alu instid0(VALU_DEP_4)
	v_add_co_u32 v8, vcc_lo, s4, v8
	v_add_co_ci_u32_e32 v9, vcc_lo, s5, v9, vcc_lo
	s_clause 0x2
	global_load_b128 v[36:39], v[36:37], off offset:1248
	global_load_b128 v[40:43], v[40:41], off offset:1248
	;; [unrolled: 1-line block ×3, first 2 shown]
	v_lshlrev_b64 v[7:8], 2, v[4:5]
	v_lshlrev_b32_e32 v4, 2, v3
	s_delay_alu instid0(VALU_DEP_2) | instskip(NEXT) | instid1(VALU_DEP_3)
	v_add_co_u32 v7, vcc_lo, s4, v7
	v_add_co_ci_u32_e32 v8, vcc_lo, s5, v8, vcc_lo
	global_load_b128 v[48:51], v[7:8], off offset:1248
	v_lshlrev_b64 v[7:8], 2, v[4:5]
	s_delay_alu instid0(VALU_DEP_1) | instskip(NEXT) | instid1(VALU_DEP_2)
	v_add_co_u32 v7, vcc_lo, s4, v7
	v_add_co_ci_u32_e32 v8, vcc_lo, s5, v8, vcc_lo
	v_add_co_u32 v1, vcc_lo, s8, v1
	v_add_co_ci_u32_e32 v2, vcc_lo, s9, v2, vcc_lo
	global_load_b128 v[52:55], v[7:8], off offset:1248
	ds_load_u16 v4, v6 offset:3024
	ds_load_u16 v7, v6 offset:1890
	;; [unrolled: 1-line block ×24, first 2 shown]
	ds_load_u16 v6, v6
	s_waitcnt vmcnt(4)
	v_lshrrev_b32_e32 v71, 16, v36
	v_lshrrev_b32_e32 v72, 16, v37
	;; [unrolled: 1-line block ×4, first 2 shown]
	s_waitcnt vmcnt(3)
	v_lshrrev_b32_e32 v83, 16, v40
	v_mul_f16_e32 v80, v32, v71
	v_mul_f16_e32 v79, v33, v72
	;; [unrolled: 1-line block ×4, first 2 shown]
	s_waitcnt lgkmcnt(22)
	v_mul_f16_e32 v72, v8, v72
	s_waitcnt lgkmcnt(11)
	v_mul_f16_e32 v73, v64, v73
	v_mul_f16_e32 v71, v58, v71
	;; [unrolled: 1-line block ×3, first 2 shown]
	v_lshrrev_b32_e32 v84, 16, v41
	v_lshrrev_b32_e32 v85, 16, v42
	;; [unrolled: 1-line block ×3, first 2 shown]
	v_fma_f16 v8, v37, v8, -v79
	v_fma_f16 v58, v36, v58, -v80
	;; [unrolled: 1-line block ×4, first 2 shown]
	v_fmac_f16_e32 v72, v33, v37
	v_fmac_f16_e32 v73, v35, v38
	;; [unrolled: 1-line block ×4, first 2 shown]
	v_mul_f16_e32 v32, v29, v84
	v_mul_f16_e32 v33, v28, v83
	;; [unrolled: 1-line block ×5, first 2 shown]
	s_waitcnt lgkmcnt(10)
	v_mul_f16_e32 v37, v65, v85
	v_mul_f16_e32 v38, v59, v83
	;; [unrolled: 1-line block ×3, first 2 shown]
	s_waitcnt vmcnt(2)
	v_lshrrev_b32_e32 v80, 16, v45
	v_lshrrev_b32_e32 v81, 16, v46
	;; [unrolled: 1-line block ×4, first 2 shown]
	v_sub_f16_e32 v83, v8, v58
	v_sub_f16_e32 v84, v64, v4
	v_add_f16_e32 v86, v58, v4
	v_sub_f16_e32 v87, v71, v74
	v_sub_f16_e32 v88, v72, v71
	;; [unrolled: 1-line block ×4, first 2 shown]
	v_add_f16_e32 v91, v71, v74
	v_sub_f16_e32 v93, v58, v8
	v_sub_f16_e32 v94, v4, v64
	;; [unrolled: 1-line block ×4, first 2 shown]
	s_waitcnt lgkmcnt(4)
	v_add_f16_e32 v58, v58, v75
	v_add_f16_e32 v71, v27, v71
	v_fma_f16 v9, v41, v9, -v32
	v_fma_f16 v32, v40, v59, -v33
	;; [unrolled: 1-line block ×4, first 2 shown]
	v_fmac_f16_e32 v36, v29, v41
	v_fmac_f16_e32 v37, v30, v42
	;; [unrolled: 1-line block ×4, first 2 shown]
	v_mul_f16_e32 v29, v24, v80
	v_mul_f16_e32 v30, v26, v82
	;; [unrolled: 1-line block ×3, first 2 shown]
	v_sub_f16_e32 v85, v72, v73
	v_sub_f16_e32 v92, v8, v64
	v_add_f16_e32 v95, v8, v64
	v_add_f16_e32 v98, v72, v73
	v_mul_f16_e32 v28, v23, v79
	v_mul_f16_e32 v35, v68, v79
	;; [unrolled: 1-line block ×5, first 2 shown]
	s_waitcnt vmcnt(1)
	v_lshrrev_b32_e32 v43, 16, v48
	v_add_f16_e32 v79, v83, v84
	v_add_f16_e32 v81, v88, v89
	v_fma_f16 v82, -0.5, v91, v27
	v_add_f16_e32 v83, v93, v94
	v_add_f16_e32 v84, v96, v97
	;; [unrolled: 1-line block ×4, first 2 shown]
	v_sub_f16_e32 v71, v9, v32
	v_sub_f16_e32 v72, v33, v34
	v_add_f16_e32 v88, v32, v34
	v_sub_f16_e32 v91, v36, v38
	v_sub_f16_e32 v93, v37, v39
	v_sub_f16_e32 v94, v32, v34
	v_sub_f16_e32 v97, v32, v9
	s_waitcnt lgkmcnt(3)
	v_add_f16_e32 v32, v32, v76
	v_fma_f16 v18, v45, v18, -v29
	v_fma_f16 v29, v47, v61, -v30
	;; [unrolled: 1-line block ×3, first 2 shown]
	v_lshrrev_b32_e32 v59, 16, v49
	v_lshrrev_b32_e32 v60, 16, v50
	;; [unrolled: 1-line block ×3, first 2 shown]
	v_fma_f16 v80, -0.5, v86, v75
	v_fma_f16 v75, -0.5, v95, v75
	v_add_f16_e32 v95, v38, v39
	v_sub_f16_e32 v96, v9, v33
	v_add_f16_e32 v99, v9, v33
	v_fmac_f16_e32 v35, v23, v44
	v_fmac_f16_e32 v40, v26, v47
	;; [unrolled: 1-line block ×3, first 2 shown]
	v_mul_f16_e32 v31, v69, v43
	s_waitcnt vmcnt(0)
	v_lshrrev_b32_e32 v46, 16, v52
	v_add_f16_e32 v8, v64, v8
	v_add_f16_e32 v64, v71, v72
	;; [unrolled: 1-line block ×5, first 2 shown]
	v_fma_f16 v27, -0.5, v98, v27
	v_sub_f16_e32 v89, v38, v39
	v_sub_f16_e32 v98, v34, v33
	;; [unrolled: 1-line block ×4, first 2 shown]
	v_add_f16_e32 v38, v22, v38
	v_fma_f16 v28, v44, v68, -v28
	v_fmac_f16_e32 v41, v24, v45
	v_mul_f16_e32 v23, v17, v43
	v_mul_f16_e32 v24, v19, v59
	;; [unrolled: 1-line block ×7, first 2 shown]
	v_lshrrev_b32_e32 v47, 16, v53
	v_lshrrev_b32_e32 v59, 16, v54
	;; [unrolled: 1-line block ×3, first 2 shown]
	v_add_f16_e32 v58, v58, v73
	v_fma_f16 v73, -0.5, v95, v22
	v_sub_f16_e32 v95, v35, v40
	v_fmac_f16_e32 v31, v17, v48
	v_mul_f16_e32 v17, v13, v46
	v_mul_f16_e32 v46, v70, v46
	v_add_f16_e32 v8, v4, v8
	v_add_f16_e32 v4, v33, v9
	s_waitcnt lgkmcnt(2)
	v_fma_f16 v33, -0.5, v93, v77
	v_sub_f16_e32 v86, v36, v37
	v_add_f16_e32 v102, v36, v37
	v_fmamk_f16 v65, v92, 0xbb9c, v82
	v_fmac_f16_e32 v82, 0x3b9c, v92
	v_fma_f16 v71, -0.5, v88, v76
	v_add_f16_e32 v88, v97, v98
	v_fma_f16 v76, -0.5, v99, v76
	v_add_f16_e32 v91, v100, v101
	v_add_f16_e32 v32, v36, v38
	v_sub_f16_e32 v36, v28, v18
	v_sub_f16_e32 v38, v29, v30
	;; [unrolled: 1-line block ×5, first 2 shown]
	v_add_f16_e32 v100, v41, v42
	v_sub_f16_e32 v101, v28, v29
	v_sub_f16_e32 v103, v18, v28
	;; [unrolled: 1-line block ×3, first 2 shown]
	v_add_f16_e32 v105, v28, v29
	v_add_f16_e32 v28, v28, v77
	v_sub_f16_e32 v106, v41, v35
	v_add_f16_e32 v108, v35, v40
	v_add_f16_e32 v35, v16, v35
	v_fma_f16 v23, v48, v69, -v23
	v_fma_f16 v24, v49, v56, -v24
	;; [unrolled: 1-line block ×3, first 2 shown]
	v_fmac_f16_e32 v43, v21, v51
	v_fmac_f16_e32 v44, v19, v49
	;; [unrolled: 1-line block ×3, first 2 shown]
	v_mul_f16_e32 v19, v14, v47
	v_mul_f16_e32 v20, v15, v60
	;; [unrolled: 1-line block ×3, first 2 shown]
	v_fmac_f16_e32 v46, v13, v52
	v_fmamk_f16 v13, v95, 0xbb9c, v33
	v_fmac_f16_e32 v33, 0x3b9c, v95
	v_fmamk_f16 v61, v85, 0x3b9c, v80
	;; [unrolled: 2-line block ×3, first 2 shown]
	v_fmac_f16_e32 v27, 0x3b9c, v90
	v_fma_f16 v22, -0.5, v102, v22
	v_sub_f16_e32 v102, v18, v30
	v_fma_f16 v26, v50, v67, -v26
	v_mul_f16_e32 v48, v63, v60
	v_mul_f16_e32 v49, v7, v59
	v_fmac_f16_e32 v65, 0x38b4, v90
	v_fmac_f16_e32 v82, 0xb8b4, v90
	v_add_f16_e32 v9, v32, v37
	v_add_f16_e32 v32, v36, v38
	;; [unrolled: 1-line block ×3, first 2 shown]
	v_fma_f16 v37, -0.5, v100, v16
	v_add_f16_e32 v38, v103, v104
	v_fma_f16 v60, -0.5, v105, v77
	v_add_f16_e32 v18, v18, v28
	v_add_f16_e32 v35, v35, v41
	v_sub_f16_e32 v41, v23, v24
	v_sub_f16_e32 v69, v31, v43
	v_sub_f16_e32 v77, v31, v44
	v_sub_f16_e32 v90, v23, v25
	v_sub_f16_e32 v93, v24, v23
	v_add_f16_e32 v99, v23, v25
	v_sub_f16_e32 v100, v44, v31
	v_add_f16_e32 v104, v31, v43
	s_waitcnt lgkmcnt(1)
	v_add_f16_e32 v23, v23, v78
	v_add_f16_e32 v31, v11, v31
	v_fma_f16 v17, v52, v70, -v17
	v_fma_f16 v19, v53, v57, -v19
	;; [unrolled: 1-line block ×4, first 2 shown]
	v_fmac_f16_e32 v13, 0xb8b4, v97
	v_fmac_f16_e32 v33, 0x38b4, v97
	v_fmamk_f16 v66, v87, 0x3b9c, v75
	v_fmac_f16_e32 v75, 0xbb9c, v87
	v_fmac_f16_e32 v61, 0xb8b4, v87
	;; [unrolled: 1-line block ×3, first 2 shown]
	v_add_f16_e32 v87, v44, v45
	v_fmac_f16_e32 v68, 0xb8b4, v92
	v_fmac_f16_e32 v27, 0x38b4, v92
	v_fma_f16 v16, -0.5, v108, v16
	v_add_f16_e32 v67, v24, v26
	v_sub_f16_e32 v92, v24, v26
	v_fmac_f16_e32 v49, v12, v54
	v_add_f16_e32 v12, v34, v4
	v_add_f16_e32 v4, v30, v18
	;; [unrolled: 1-line block ×5, first 2 shown]
	v_fmac_f16_e32 v13, 0x34f2, v32
	v_fmac_f16_e32 v33, 0x34f2, v32
	v_add_f16_e32 v32, v17, v20
	v_mul_f16_e32 v47, v57, v47
	v_add_f16_e32 v9, v9, v39
	v_fma_f16 v39, -0.5, v87, v11
	v_sub_f16_e32 v107, v42, v40
	v_fmamk_f16 v18, v102, 0xbb9c, v16
	v_fmac_f16_e32 v16, 0x3b9c, v102
	v_add_f16_e32 v21, v35, v42
	v_fma_f16 v34, -0.5, v67, v78
	v_fma_f16 v11, -0.5, v104, v11
	v_add_f16_e32 v29, v29, v4
	v_add_f16_e32 v4, v26, v23
	;; [unrolled: 1-line block ×3, first 2 shown]
	s_waitcnt lgkmcnt(0)
	v_fma_f16 v24, -0.5, v31, v6
	v_fma_f16 v32, -0.5, v32, v6
	v_add_f16_e32 v6, v17, v6
	v_fmac_f16_e32 v66, 0x38b4, v85
	v_fmac_f16_e32 v75, 0xb8b4, v85
	v_add_f16_e32 v50, v58, v74
	v_sub_f16_e32 v74, v44, v45
	v_sub_f16_e32 v85, v43, v45
	v_fmac_f16_e32 v47, v14, v53
	v_fmamk_f16 v14, v101, 0x3b9c, v37
	v_fmac_f16_e32 v37, 0xbb9c, v101
	v_fma_f16 v42, -0.5, v99, v78
	v_fmamk_f16 v53, v90, 0x3b9c, v39
	v_fmac_f16_e32 v39, 0xbb9c, v90
	v_add_f16_e32 v28, v106, v107
	v_sub_f16_e32 v62, v25, v26
	v_sub_f16_e32 v103, v45, v43
	v_fmac_f16_e32 v48, v15, v55
	v_fmac_f16_e32 v18, 0x38b4, v101
	;; [unrolled: 1-line block ×3, first 2 shown]
	v_add_f16_e32 v21, v40, v21
	v_fmamk_f16 v40, v69, 0xbb9c, v34
	v_fmamk_f16 v55, v92, 0xbb9c, v11
	v_fmac_f16_e32 v11, 0x3b9c, v92
	v_fmac_f16_e32 v34, 0x3b9c, v69
	v_add_f16_e32 v6, v19, v6
	v_sub_f16_e32 v98, v26, v25
	v_add_f16_e32 v35, v77, v85
	v_fmac_f16_e32 v14, 0x38b4, v102
	v_fmac_f16_e32 v37, 0xb8b4, v102
	v_fmamk_f16 v54, v74, 0x3b9c, v42
	v_fmac_f16_e32 v42, 0xbb9c, v74
	v_fmac_f16_e32 v53, 0x38b4, v92
	;; [unrolled: 1-line block ×3, first 2 shown]
	v_add_f16_e32 v30, v41, v62
	v_add_f16_e32 v52, v100, v103
	v_sub_f16_e32 v44, v46, v48
	v_fmac_f16_e32 v18, 0x34f2, v28
	v_fmac_f16_e32 v16, 0x34f2, v28
	;; [unrolled: 1-line block ×6, first 2 shown]
	v_add_f16_e32 v25, v25, v4
	v_sub_f16_e32 v4, v17, v19
	v_sub_f16_e32 v26, v20, v7
	v_add_f16_e32 v28, v47, v49
	v_add_f16_e32 v6, v7, v6
	;; [unrolled: 1-line block ×3, first 2 shown]
	v_fmac_f16_e32 v14, 0x34f2, v36
	v_fmac_f16_e32 v37, 0x34f2, v36
	v_fmac_f16_e32 v54, 0xb8b4, v69
	v_fmac_f16_e32 v42, 0x38b4, v69
	v_fmac_f16_e32 v53, 0x34f2, v35
	v_fmac_f16_e32 v39, 0x34f2, v35
	v_sub_f16_e32 v35, v46, v47
	v_sub_f16_e32 v36, v48, v49
	v_add_f16_e32 v45, v46, v48
	v_fmac_f16_e32 v40, 0x34f2, v30
	v_fmac_f16_e32 v55, 0x34f2, v52
	;; [unrolled: 1-line block ×4, first 2 shown]
	v_fmamk_f16 v30, v44, 0xbb9c, v24
	v_sub_f16_e32 v31, v47, v49
	v_add_f16_e32 v4, v4, v26
	v_fma_f16 v26, -0.5, v28, v10
	v_sub_f16_e32 v28, v17, v20
	v_sub_f16_e32 v52, v7, v20
	v_fmac_f16_e32 v24, 0x3b9c, v44
	v_add_f16_e32 v6, v20, v6
	v_mul_hi_u32 v20, 0xa01a01a1, v0
	v_fmamk_f16 v15, v97, 0x3b9c, v60
	v_fmac_f16_e32 v60, 0xbb9c, v97
	v_fmac_f16_e32 v54, 0x34f2, v41
	v_fmac_f16_e32 v42, 0x34f2, v41
	v_add_f16_e32 v23, v43, v23
	v_sub_f16_e32 v41, v19, v7
	v_sub_f16_e32 v43, v19, v17
	v_add_f16_e32 v35, v35, v36
	v_fma_f16 v36, -0.5, v45, v10
	v_add_f16_e32 v10, v10, v46
	v_fmac_f16_e32 v30, 0xb8b4, v31
	v_fmac_f16_e32 v24, 0x38b4, v31
	;; [unrolled: 1-line block ×4, first 2 shown]
	v_fmamk_f16 v57, v31, 0xbb9c, v32
	v_add_f16_e32 v43, v43, v52
	v_sub_f16_e32 v45, v47, v46
	v_sub_f16_e32 v52, v49, v48
	v_fmamk_f16 v62, v41, 0x3b9c, v36
	v_add_f16_e32 v10, v10, v47
	v_sub_nc_u32_e32 v0, v0, v20
	v_fmac_f16_e32 v30, 0x34f2, v4
	v_fmac_f16_e32 v24, 0x34f2, v4
	v_mov_b32_e32 v4, v5
	v_fmac_f16_e32 v15, 0x34f2, v38
	v_fmac_f16_e32 v60, 0x34f2, v38
	v_fmamk_f16 v38, v28, 0x3b9c, v26
	v_fmac_f16_e32 v57, 0x38b4, v44
	v_add_f16_e32 v45, v45, v52
	v_fmac_f16_e32 v62, 0xb8b4, v28
	v_fmac_f16_e32 v26, 0xbb9c, v28
	v_add_f16_e32 v7, v10, v49
	v_lshrrev_b32_e32 v0, 1, v0
	v_lshlrev_b64 v[3:4], 2, v[3:4]
	v_fmamk_f16 v58, v89, 0x3b9c, v76
	v_fmamk_f16 v59, v94, 0xbb9c, v22
	;; [unrolled: 1-line block ×4, first 2 shown]
	v_fmac_f16_e32 v71, 0xbb9c, v86
	v_fmac_f16_e32 v73, 0x3b9c, v96
	v_fmac_f16_e32 v57, 0x34f2, v43
	v_fmac_f16_e32 v62, 0x34f2, v45
	v_fmac_f16_e32 v26, 0xb8b4, v41
	v_add_f16_e32 v7, v48, v7
	v_add_nc_u32_e32 v0, v0, v20
	v_fmac_f16_e32 v32, 0x3b9c, v31
	v_fmac_f16_e32 v36, 0xbb9c, v41
	;; [unrolled: 1-line block ×4, first 2 shown]
	v_add_co_u32 v1, vcc_lo, v1, v3
	v_fmac_f16_e32 v71, 0x38b4, v89
	v_fmac_f16_e32 v73, 0xb8b4, v94
	;; [unrolled: 1-line block ×3, first 2 shown]
	v_add_co_ci_u32_e32 v2, vcc_lo, v2, v4, vcc_lo
	v_pack_b32_f16 v3, v7, v6
	v_pack_b32_f16 v4, v62, v57
	v_lshrrev_b32_e32 v0, 8, v0
	v_fmac_f16_e32 v32, 0xb8b4, v44
	v_fmac_f16_e32 v36, 0x38b4, v28
	v_pack_b32_f16 v23, v23, v25
	v_pack_b32_f16 v11, v11, v42
	;; [unrolled: 1-line block ×5, first 2 shown]
	v_fmac_f16_e32 v58, 0x34f2, v88
	v_fmac_f16_e32 v59, 0x34f2, v91
	;; [unrolled: 1-line block ×6, first 2 shown]
	v_pack_b32_f16 v10, v26, v24
	s_clause 0x5
	global_store_b32 v[1:2], v3, off
	global_store_b32 v[1:2], v23, off offset:252
	global_store_b32 v[1:2], v21, off offset:504
	;; [unrolled: 1-line block ×5, first 2 shown]
	v_mul_u32_u24_e32 v4, 0x4ec, v0
	v_fmac_f16_e32 v32, 0x34f2, v43
	v_fmac_f16_e32 v36, 0x34f2, v45
	v_pack_b32_f16 v24, v39, v34
	v_pack_b32_f16 v3, v37, v33
	global_store_b32 v[1:2], v9, off offset:756
	v_pack_b32_f16 v9, v59, v58
	v_fmac_f16_e32 v76, 0xbb9c, v89
	v_fmac_f16_e32 v22, 0x3b9c, v94
	;; [unrolled: 1-line block ×4, first 2 shown]
	v_pack_b32_f16 v16, v73, v71
	s_clause 0x4
	global_store_b32 v[1:2], v10, off offset:1260
	global_store_b32 v[1:2], v24, off offset:1512
	;; [unrolled: 1-line block ×5, first 2 shown]
	v_lshlrev_b64 v[3:4], 2, v[4:5]
	v_fmac_f16_e32 v38, 0x38b4, v41
	v_pack_b32_f16 v17, v36, v32
	v_add_co_u32 v6, vcc_lo, 0x1000, v1
	v_pack_b32_f16 v25, v55, v54
	v_add_co_ci_u32_e32 v7, vcc_lo, 0, v2, vcc_lo
	v_pack_b32_f16 v11, v18, v15
	v_fmac_f16_e32 v76, 0xb8b4, v86
	v_fmac_f16_e32 v22, 0x38b4, v96
	v_pack_b32_f16 v0, v56, v51
	v_fmac_f16_e32 v38, 0x34f2, v35
	s_clause 0x3
	global_store_b32 v[1:2], v17, off offset:3780
	global_store_b32 v[1:2], v25, off offset:4032
	;; [unrolled: 1-line block ×4, first 2 shown]
	v_add_co_u32 v0, vcc_lo, v1, v3
	v_add_co_ci_u32_e32 v1, vcc_lo, v2, v4, vcc_lo
	v_fmac_f16_e32 v76, 0x34f2, v88
	v_fmac_f16_e32 v22, 0x34f2, v91
	;; [unrolled: 1-line block ×10, first 2 shown]
	v_pack_b32_f16 v19, v38, v30
	v_add_co_u32 v2, vcc_lo, 0x3f0, v0
	v_pack_b32_f16 v26, v53, v40
	v_pack_b32_f16 v12, v14, v13
	v_add_co_ci_u32_e32 v3, vcc_lo, 0, v1, vcc_lo
	v_pack_b32_f16 v9, v22, v76
	v_add_co_u32 v4, vcc_lo, 0x1000, v0
	v_pack_b32_f16 v8, v50, v8
	v_pack_b32_f16 v10, v68, v66
	;; [unrolled: 1-line block ×5, first 2 shown]
	v_add_co_ci_u32_e32 v5, vcc_lo, 0, v1, vcc_lo
	s_clause 0x8
	global_store_b32 v[6:7], v19, off offset:944
	global_store_b32 v[6:7], v26, off offset:1196
	;; [unrolled: 1-line block ×9, first 2 shown]
.LBB0_35:
	s_nop 0
	s_sendmsg sendmsg(MSG_DEALLOC_VGPRS)
	s_endpgm
	.section	.rodata,"a",@progbits
	.p2align	6, 0x0
	.amdhsa_kernel fft_rtc_back_len1575_factors_3_3_5_7_5_wgs_63_tpt_63_halfLds_half_ip_CI_unitstride_sbrr_dirReg
		.amdhsa_group_segment_fixed_size 0
		.amdhsa_private_segment_fixed_size 0
		.amdhsa_kernarg_size 88
		.amdhsa_user_sgpr_count 15
		.amdhsa_user_sgpr_dispatch_ptr 0
		.amdhsa_user_sgpr_queue_ptr 0
		.amdhsa_user_sgpr_kernarg_segment_ptr 1
		.amdhsa_user_sgpr_dispatch_id 0
		.amdhsa_user_sgpr_private_segment_size 0
		.amdhsa_wavefront_size32 1
		.amdhsa_uses_dynamic_stack 0
		.amdhsa_enable_private_segment 0
		.amdhsa_system_sgpr_workgroup_id_x 1
		.amdhsa_system_sgpr_workgroup_id_y 0
		.amdhsa_system_sgpr_workgroup_id_z 0
		.amdhsa_system_sgpr_workgroup_info 0
		.amdhsa_system_vgpr_workitem_id 0
		.amdhsa_next_free_vgpr 133
		.amdhsa_next_free_sgpr 21
		.amdhsa_reserve_vcc 1
		.amdhsa_float_round_mode_32 0
		.amdhsa_float_round_mode_16_64 0
		.amdhsa_float_denorm_mode_32 3
		.amdhsa_float_denorm_mode_16_64 3
		.amdhsa_dx10_clamp 1
		.amdhsa_ieee_mode 1
		.amdhsa_fp16_overflow 0
		.amdhsa_workgroup_processor_mode 1
		.amdhsa_memory_ordered 1
		.amdhsa_forward_progress 0
		.amdhsa_shared_vgpr_count 0
		.amdhsa_exception_fp_ieee_invalid_op 0
		.amdhsa_exception_fp_denorm_src 0
		.amdhsa_exception_fp_ieee_div_zero 0
		.amdhsa_exception_fp_ieee_overflow 0
		.amdhsa_exception_fp_ieee_underflow 0
		.amdhsa_exception_fp_ieee_inexact 0
		.amdhsa_exception_int_div_zero 0
	.end_amdhsa_kernel
	.text
.Lfunc_end0:
	.size	fft_rtc_back_len1575_factors_3_3_5_7_5_wgs_63_tpt_63_halfLds_half_ip_CI_unitstride_sbrr_dirReg, .Lfunc_end0-fft_rtc_back_len1575_factors_3_3_5_7_5_wgs_63_tpt_63_halfLds_half_ip_CI_unitstride_sbrr_dirReg
                                        ; -- End function
	.section	.AMDGPU.csdata,"",@progbits
; Kernel info:
; codeLenInByte = 16692
; NumSgprs: 23
; NumVgprs: 133
; ScratchSize: 0
; MemoryBound: 0
; FloatMode: 240
; IeeeMode: 1
; LDSByteSize: 0 bytes/workgroup (compile time only)
; SGPRBlocks: 2
; VGPRBlocks: 16
; NumSGPRsForWavesPerEU: 23
; NumVGPRsForWavesPerEU: 133
; Occupancy: 10
; WaveLimiterHint : 1
; COMPUTE_PGM_RSRC2:SCRATCH_EN: 0
; COMPUTE_PGM_RSRC2:USER_SGPR: 15
; COMPUTE_PGM_RSRC2:TRAP_HANDLER: 0
; COMPUTE_PGM_RSRC2:TGID_X_EN: 1
; COMPUTE_PGM_RSRC2:TGID_Y_EN: 0
; COMPUTE_PGM_RSRC2:TGID_Z_EN: 0
; COMPUTE_PGM_RSRC2:TIDIG_COMP_CNT: 0
	.text
	.p2alignl 7, 3214868480
	.fill 96, 4, 3214868480
	.type	__hip_cuid_d4453933c63d3529,@object ; @__hip_cuid_d4453933c63d3529
	.section	.bss,"aw",@nobits
	.globl	__hip_cuid_d4453933c63d3529
__hip_cuid_d4453933c63d3529:
	.byte	0                               ; 0x0
	.size	__hip_cuid_d4453933c63d3529, 1

	.ident	"AMD clang version 19.0.0git (https://github.com/RadeonOpenCompute/llvm-project roc-6.4.0 25133 c7fe45cf4b819c5991fe208aaa96edf142730f1d)"
	.section	".note.GNU-stack","",@progbits
	.addrsig
	.addrsig_sym __hip_cuid_d4453933c63d3529
	.amdgpu_metadata
---
amdhsa.kernels:
  - .args:
      - .actual_access:  read_only
        .address_space:  global
        .offset:         0
        .size:           8
        .value_kind:     global_buffer
      - .offset:         8
        .size:           8
        .value_kind:     by_value
      - .actual_access:  read_only
        .address_space:  global
        .offset:         16
        .size:           8
        .value_kind:     global_buffer
      - .actual_access:  read_only
        .address_space:  global
        .offset:         24
        .size:           8
        .value_kind:     global_buffer
      - .offset:         32
        .size:           8
        .value_kind:     by_value
      - .actual_access:  read_only
        .address_space:  global
        .offset:         40
        .size:           8
        .value_kind:     global_buffer
      - .actual_access:  read_only
        .address_space:  global
        .offset:         48
        .size:           8
        .value_kind:     global_buffer
      - .offset:         56
        .size:           4
        .value_kind:     by_value
      - .actual_access:  read_only
        .address_space:  global
        .offset:         64
        .size:           8
        .value_kind:     global_buffer
      - .actual_access:  read_only
        .address_space:  global
        .offset:         72
        .size:           8
        .value_kind:     global_buffer
      - .address_space:  global
        .offset:         80
        .size:           8
        .value_kind:     global_buffer
    .group_segment_fixed_size: 0
    .kernarg_segment_align: 8
    .kernarg_segment_size: 88
    .language:       OpenCL C
    .language_version:
      - 2
      - 0
    .max_flat_workgroup_size: 63
    .name:           fft_rtc_back_len1575_factors_3_3_5_7_5_wgs_63_tpt_63_halfLds_half_ip_CI_unitstride_sbrr_dirReg
    .private_segment_fixed_size: 0
    .sgpr_count:     23
    .sgpr_spill_count: 0
    .symbol:         fft_rtc_back_len1575_factors_3_3_5_7_5_wgs_63_tpt_63_halfLds_half_ip_CI_unitstride_sbrr_dirReg.kd
    .uniform_work_group_size: 1
    .uses_dynamic_stack: false
    .vgpr_count:     133
    .vgpr_spill_count: 0
    .wavefront_size: 32
    .workgroup_processor_mode: 1
amdhsa.target:   amdgcn-amd-amdhsa--gfx1100
amdhsa.version:
  - 1
  - 2
...

	.end_amdgpu_metadata
